;; amdgpu-corpus repo=ROCm/rocFFT kind=compiled arch=gfx950 opt=O3
	.text
	.amdgcn_target "amdgcn-amd-amdhsa--gfx950"
	.amdhsa_code_object_version 6
	.protected	fft_rtc_back_len1925_factors_7_11_5_5_wgs_55_tpt_55_halfLds_dp_op_CI_CI_sbrr_dirReg ; -- Begin function fft_rtc_back_len1925_factors_7_11_5_5_wgs_55_tpt_55_halfLds_dp_op_CI_CI_sbrr_dirReg
	.globl	fft_rtc_back_len1925_factors_7_11_5_5_wgs_55_tpt_55_halfLds_dp_op_CI_CI_sbrr_dirReg
	.p2align	8
	.type	fft_rtc_back_len1925_factors_7_11_5_5_wgs_55_tpt_55_halfLds_dp_op_CI_CI_sbrr_dirReg,@function
fft_rtc_back_len1925_factors_7_11_5_5_wgs_55_tpt_55_halfLds_dp_op_CI_CI_sbrr_dirReg: ; @fft_rtc_back_len1925_factors_7_11_5_5_wgs_55_tpt_55_halfLds_dp_op_CI_CI_sbrr_dirReg
; %bb.0:
	s_load_dwordx4 s[12:15], s[0:1], 0x18
	s_load_dwordx4 s[8:11], s[0:1], 0x0
	;; [unrolled: 1-line block ×3, first 2 shown]
	v_mul_u32_u24_e32 v1, 0x4a8, v0
	v_add_u32_sdwa v6, s2, v1 dst_sel:DWORD dst_unused:UNUSED_PAD src0_sel:DWORD src1_sel:WORD_1
	s_waitcnt lgkmcnt(0)
	s_load_dwordx2 s[18:19], s[12:13], 0x0
	s_load_dwordx2 s[16:17], s[14:15], 0x0
	v_mov_b32_e32 v2, 0
	v_cmp_lt_u64_e64 s[2:3], s[10:11], 2
	v_mov_b32_e32 v7, v2
	s_and_b64 vcc, exec, s[2:3]
	v_mov_b64_e32 v[4:5], 0
	s_cbranch_vccnz .LBB0_8
; %bb.1:
	s_load_dwordx2 s[2:3], s[0:1], 0x10
	s_add_u32 s20, s14, 8
	s_addc_u32 s21, s15, 0
	s_add_u32 s22, s12, 8
	s_addc_u32 s23, s13, 0
	s_waitcnt lgkmcnt(0)
	s_add_u32 s24, s2, 8
	v_mov_b64_e32 v[4:5], 0
	s_addc_u32 s25, s3, 0
	s_mov_b64 s[26:27], 1
	v_mov_b64_e32 v[218:219], v[4:5]
.LBB0_2:                                ; =>This Inner Loop Header: Depth=1
	s_load_dwordx2 s[28:29], s[24:25], 0x0
                                        ; implicit-def: $vgpr220_vgpr221
	s_waitcnt lgkmcnt(0)
	v_or_b32_e32 v3, s29, v7
	v_cmp_ne_u64_e32 vcc, 0, v[2:3]
	s_and_saveexec_b64 s[2:3], vcc
	s_xor_b64 s[30:31], exec, s[2:3]
	s_cbranch_execz .LBB0_4
; %bb.3:                                ;   in Loop: Header=BB0_2 Depth=1
	v_cvt_f32_u32_e32 v1, s28
	v_cvt_f32_u32_e32 v3, s29
	s_sub_u32 s2, 0, s28
	s_subb_u32 s3, 0, s29
	v_fmac_f32_e32 v1, 0x4f800000, v3
	v_rcp_f32_e32 v1, v1
	s_nop 0
	v_mul_f32_e32 v1, 0x5f7ffffc, v1
	v_mul_f32_e32 v3, 0x2f800000, v1
	v_trunc_f32_e32 v3, v3
	v_fmac_f32_e32 v1, 0xcf800000, v3
	v_cvt_u32_f32_e32 v3, v3
	v_cvt_u32_f32_e32 v1, v1
	v_mul_lo_u32 v8, s2, v3
	v_mul_hi_u32 v10, s2, v1
	v_mul_lo_u32 v9, s3, v1
	v_add_u32_e32 v10, v10, v8
	v_mul_lo_u32 v12, s2, v1
	v_add_u32_e32 v13, v10, v9
	v_mul_hi_u32 v8, v1, v12
	v_mul_hi_u32 v11, v1, v13
	v_mul_lo_u32 v10, v1, v13
	v_mov_b32_e32 v9, v2
	v_lshl_add_u64 v[8:9], v[8:9], 0, v[10:11]
	v_mul_hi_u32 v11, v3, v12
	v_mul_lo_u32 v12, v3, v12
	v_add_co_u32_e32 v8, vcc, v8, v12
	v_mul_hi_u32 v10, v3, v13
	s_nop 0
	v_addc_co_u32_e32 v8, vcc, v9, v11, vcc
	v_mov_b32_e32 v9, v2
	s_nop 0
	v_addc_co_u32_e32 v11, vcc, 0, v10, vcc
	v_mul_lo_u32 v10, v3, v13
	v_lshl_add_u64 v[8:9], v[8:9], 0, v[10:11]
	v_add_co_u32_e32 v1, vcc, v1, v8
	v_mul_lo_u32 v10, s2, v1
	s_nop 0
	v_addc_co_u32_e32 v3, vcc, v3, v9, vcc
	v_mul_lo_u32 v8, s2, v3
	v_mul_hi_u32 v9, s2, v1
	v_add_u32_e32 v8, v9, v8
	v_mul_lo_u32 v9, s3, v1
	v_add_u32_e32 v12, v8, v9
	v_mul_hi_u32 v14, v3, v10
	v_mul_lo_u32 v15, v3, v10
	v_mul_hi_u32 v9, v1, v12
	v_mul_lo_u32 v8, v1, v12
	v_mul_hi_u32 v10, v1, v10
	v_mov_b32_e32 v11, v2
	v_lshl_add_u64 v[8:9], v[10:11], 0, v[8:9]
	v_add_co_u32_e32 v8, vcc, v8, v15
	v_mul_hi_u32 v13, v3, v12
	s_nop 0
	v_addc_co_u32_e32 v8, vcc, v9, v14, vcc
	v_mul_lo_u32 v10, v3, v12
	s_nop 0
	v_addc_co_u32_e32 v11, vcc, 0, v13, vcc
	v_mov_b32_e32 v9, v2
	v_lshl_add_u64 v[8:9], v[8:9], 0, v[10:11]
	v_add_co_u32_e32 v1, vcc, v1, v8
	v_mul_hi_u32 v10, v6, v1
	s_nop 0
	v_addc_co_u32_e32 v3, vcc, v3, v9, vcc
	v_mad_u64_u32 v[8:9], s[2:3], v6, v3, 0
	v_mov_b32_e32 v11, v2
	v_lshl_add_u64 v[8:9], v[10:11], 0, v[8:9]
	v_mad_u64_u32 v[12:13], s[2:3], v7, v1, 0
	v_add_co_u32_e32 v1, vcc, v8, v12
	v_mad_u64_u32 v[10:11], s[2:3], v7, v3, 0
	s_nop 0
	v_addc_co_u32_e32 v8, vcc, v9, v13, vcc
	v_mov_b32_e32 v9, v2
	s_nop 0
	v_addc_co_u32_e32 v11, vcc, 0, v11, vcc
	v_lshl_add_u64 v[8:9], v[8:9], 0, v[10:11]
	v_mul_lo_u32 v1, s29, v8
	v_mul_lo_u32 v3, s28, v9
	v_mad_u64_u32 v[10:11], s[2:3], s28, v8, 0
	v_add3_u32 v1, v11, v3, v1
	v_sub_u32_e32 v3, v7, v1
	v_mov_b32_e32 v11, s29
	v_sub_co_u32_e32 v14, vcc, v6, v10
	v_lshl_add_u64 v[12:13], v[8:9], 0, 1
	s_nop 0
	v_subb_co_u32_e64 v3, s[2:3], v3, v11, vcc
	v_subrev_co_u32_e64 v10, s[2:3], s28, v14
	v_subb_co_u32_e32 v1, vcc, v7, v1, vcc
	s_nop 0
	v_subbrev_co_u32_e64 v3, s[2:3], 0, v3, s[2:3]
	v_cmp_le_u32_e64 s[2:3], s29, v3
	v_cmp_le_u32_e32 vcc, s29, v1
	s_nop 0
	v_cndmask_b32_e64 v11, 0, -1, s[2:3]
	v_cmp_le_u32_e64 s[2:3], s28, v10
	s_nop 1
	v_cndmask_b32_e64 v10, 0, -1, s[2:3]
	v_cmp_eq_u32_e64 s[2:3], s29, v3
	s_nop 1
	v_cndmask_b32_e64 v3, v11, v10, s[2:3]
	v_lshl_add_u64 v[10:11], v[8:9], 0, 2
	v_cmp_ne_u32_e64 s[2:3], 0, v3
	s_nop 1
	v_cndmask_b32_e64 v3, v13, v11, s[2:3]
	v_cndmask_b32_e64 v11, 0, -1, vcc
	v_cmp_le_u32_e32 vcc, s28, v14
	s_nop 1
	v_cndmask_b32_e64 v13, 0, -1, vcc
	v_cmp_eq_u32_e32 vcc, s29, v1
	s_nop 1
	v_cndmask_b32_e32 v1, v11, v13, vcc
	v_cmp_ne_u32_e32 vcc, 0, v1
	v_cndmask_b32_e64 v1, v12, v10, s[2:3]
	s_nop 0
	v_cndmask_b32_e32 v221, v9, v3, vcc
	v_cndmask_b32_e32 v220, v8, v1, vcc
.LBB0_4:                                ;   in Loop: Header=BB0_2 Depth=1
	s_andn2_saveexec_b64 s[2:3], s[30:31]
	s_cbranch_execz .LBB0_6
; %bb.5:                                ;   in Loop: Header=BB0_2 Depth=1
	v_cvt_f32_u32_e32 v1, s28
	s_sub_i32 s30, 0, s28
	v_mov_b32_e32 v221, v2
	v_rcp_iflag_f32_e32 v1, v1
	s_nop 0
	v_mul_f32_e32 v1, 0x4f7ffffe, v1
	v_cvt_u32_f32_e32 v1, v1
	v_mul_lo_u32 v3, s30, v1
	v_mul_hi_u32 v3, v1, v3
	v_add_u32_e32 v1, v1, v3
	v_mul_hi_u32 v1, v6, v1
	v_mul_lo_u32 v3, v1, s28
	v_sub_u32_e32 v3, v6, v3
	v_add_u32_e32 v8, 1, v1
	v_subrev_u32_e32 v9, s28, v3
	v_cmp_le_u32_e32 vcc, s28, v3
	s_nop 1
	v_cndmask_b32_e32 v3, v3, v9, vcc
	v_cndmask_b32_e32 v1, v1, v8, vcc
	v_add_u32_e32 v8, 1, v1
	v_cmp_le_u32_e32 vcc, s28, v3
	s_nop 1
	v_cndmask_b32_e32 v220, v1, v8, vcc
.LBB0_6:                                ;   in Loop: Header=BB0_2 Depth=1
	s_or_b64 exec, exec, s[2:3]
	v_mad_u64_u32 v[8:9], s[2:3], v220, s28, 0
	s_load_dwordx2 s[2:3], s[22:23], 0x0
	v_mul_lo_u32 v1, v221, s28
	v_mul_lo_u32 v3, v220, s29
	s_load_dwordx2 s[28:29], s[20:21], 0x0
	s_add_u32 s26, s26, 1
	v_add3_u32 v1, v9, v3, v1
	v_sub_co_u32_e32 v3, vcc, v6, v8
	s_addc_u32 s27, s27, 0
	s_nop 0
	v_subb_co_u32_e32 v1, vcc, v7, v1, vcc
	s_add_u32 s20, s20, 8
	s_waitcnt lgkmcnt(0)
	v_mul_lo_u32 v6, s2, v1
	v_mul_lo_u32 v7, s3, v3
	v_mad_u64_u32 v[4:5], s[2:3], s2, v3, v[4:5]
	s_addc_u32 s21, s21, 0
	v_add3_u32 v5, v7, v5, v6
	v_mul_lo_u32 v1, s28, v1
	v_mul_lo_u32 v6, s29, v3
	v_mad_u64_u32 v[218:219], s[2:3], s28, v3, v[218:219]
	s_add_u32 s22, s22, 8
	v_add3_u32 v219, v6, v219, v1
	s_addc_u32 s23, s23, 0
	v_mov_b64_e32 v[6:7], s[10:11]
	s_add_u32 s24, s24, 8
	v_cmp_ge_u64_e32 vcc, s[26:27], v[6:7]
	s_addc_u32 s25, s25, 0
	s_cbranch_vccnz .LBB0_9
; %bb.7:                                ;   in Loop: Header=BB0_2 Depth=1
	v_mov_b64_e32 v[6:7], v[220:221]
	s_branch .LBB0_2
.LBB0_8:
	v_mov_b64_e32 v[218:219], v[4:5]
	v_mov_b64_e32 v[220:221], v[6:7]
.LBB0_9:
	s_load_dwordx2 s[0:1], s[0:1], 0x28
	s_lshl_b64 s[10:11], s[10:11], 3
	s_add_u32 s2, s14, s10
	s_addc_u32 s3, s15, s11
                                        ; implicit-def: $vgpr230
                                        ; implicit-def: $vgpr232
                                        ; implicit-def: $vgpr233
                                        ; implicit-def: $vgpr234
                                        ; implicit-def: $vgpr82
	s_waitcnt lgkmcnt(0)
	v_cmp_gt_u64_e32 vcc, s[0:1], v[220:221]
	v_cmp_le_u64_e64 s[0:1], s[0:1], v[220:221]
	s_and_saveexec_b64 s[14:15], s[0:1]
	s_xor_b64 s[0:1], exec, s[14:15]
; %bb.10:
	s_mov_b32 s14, 0x4a7904b
	v_mul_hi_u32 v1, v0, s14
	v_mul_u32_u24_e32 v1, 55, v1
	v_sub_u32_e32 v230, v0, v1
	v_add_u32_e32 v232, 55, v230
	v_add_u32_e32 v233, 0x6e, v230
	v_add_u32_e32 v234, 0xa5, v230
	v_add_u32_e32 v82, 0xdc, v230
                                        ; implicit-def: $vgpr0
                                        ; implicit-def: $vgpr4_vgpr5
; %bb.11:
	s_or_saveexec_b64 s[0:1], s[0:1]
                                        ; implicit-def: $vgpr102_vgpr103
                                        ; implicit-def: $vgpr94_vgpr95
                                        ; implicit-def: $vgpr78_vgpr79
                                        ; implicit-def: $vgpr64_vgpr65
                                        ; implicit-def: $vgpr90_vgpr91
                                        ; implicit-def: $vgpr98_vgpr99
                                        ; implicit-def: $vgpr60_vgpr61
                                        ; implicit-def: $vgpr130_vgpr131
                                        ; implicit-def: $vgpr122_vgpr123
                                        ; implicit-def: $vgpr114_vgpr115
                                        ; implicit-def: $vgpr110_vgpr111
                                        ; implicit-def: $vgpr118_vgpr119
                                        ; implicit-def: $vgpr126_vgpr127
                                        ; implicit-def: $vgpr106_vgpr107
                                        ; implicit-def: $vgpr158_vgpr159
                                        ; implicit-def: $vgpr154_vgpr155
                                        ; implicit-def: $vgpr142_vgpr143
                                        ; implicit-def: $vgpr138_vgpr139
                                        ; implicit-def: $vgpr146_vgpr147
                                        ; implicit-def: $vgpr150_vgpr151
                                        ; implicit-def: $vgpr134_vgpr135
                                        ; implicit-def: $vgpr188_vgpr189
                                        ; implicit-def: $vgpr180_vgpr181
                                        ; implicit-def: $vgpr172_vgpr173
                                        ; implicit-def: $vgpr168_vgpr169
                                        ; implicit-def: $vgpr176_vgpr177
                                        ; implicit-def: $vgpr184_vgpr185
                                        ; implicit-def: $vgpr164_vgpr165
                                        ; implicit-def: $vgpr208_vgpr209
                                        ; implicit-def: $vgpr204_vgpr205
                                        ; implicit-def: $vgpr200_vgpr201
                                        ; implicit-def: $vgpr38_vgpr39
                                        ; implicit-def: $vgpr42_vgpr43
                                        ; implicit-def: $vgpr30_vgpr31
                                        ; implicit-def: $vgpr2_vgpr3
	s_xor_b64 exec, exec, s[0:1]
	s_cbranch_execz .LBB0_13
; %bb.12:
	s_add_u32 s10, s12, s10
	s_addc_u32 s11, s13, s11
	s_load_dwordx2 s[10:11], s[10:11], 0x0
	s_mov_b32 s12, 0x4a7904b
	s_waitcnt lgkmcnt(0)
	v_mul_lo_u32 v1, s11, v220
	v_mul_lo_u32 v6, s10, v221
	v_mad_u64_u32 v[2:3], s[10:11], s10, v220, 0
	v_add3_u32 v3, v3, v6, v1
	v_mul_hi_u32 v1, v0, s12
	v_mul_u32_u24_e32 v1, 55, v1
	v_sub_u32_e32 v230, v0, v1
	v_mad_u64_u32 v[0:1], s[10:11], s18, v230, 0
	v_mov_b32_e32 v6, v1
	v_mad_u64_u32 v[6:7], s[10:11], s19, v230, v[6:7]
	v_lshl_add_u64 v[2:3], v[2:3], 4, s[4:5]
	v_mov_b32_e32 v1, v6
	v_lshl_add_u64 v[4:5], v[4:5], 4, v[2:3]
	v_add_u32_e32 v3, 0x113, v230
	v_lshl_add_u64 v[6:7], v[0:1], 4, v[4:5]
	v_mad_u64_u32 v[0:1], s[4:5], s18, v3, 0
	v_mov_b32_e32 v2, v1
	v_mad_u64_u32 v[2:3], s[4:5], s19, v3, v[2:3]
	v_mov_b32_e32 v1, v2
	v_lshl_add_u64 v[8:9], v[0:1], 4, v[4:5]
	global_load_dwordx4 v[0:3], v[6:7], off
	global_load_dwordx4 v[28:31], v[8:9], off
	v_add_u32_e32 v9, 0x226, v230
	v_mad_u64_u32 v[6:7], s[4:5], s18, v9, 0
	v_mov_b32_e32 v8, v7
	v_mad_u64_u32 v[8:9], s[4:5], s19, v9, v[8:9]
	v_add_u32_e32 v11, 0x339, v230
	v_mov_b32_e32 v7, v8
	v_mad_u64_u32 v[8:9], s[4:5], s18, v11, 0
	v_mov_b32_e32 v10, v9
	v_mad_u64_u32 v[10:11], s[4:5], s19, v11, v[10:11]
	v_mov_b32_e32 v9, v10
	v_lshl_add_u64 v[6:7], v[6:7], 4, v[4:5]
	v_lshl_add_u64 v[8:9], v[8:9], 4, v[4:5]
	global_load_dwordx4 v[40:43], v[6:7], off
	global_load_dwordx4 v[36:39], v[8:9], off
	v_add_u32_e32 v9, 0x44c, v230
	v_mad_u64_u32 v[6:7], s[4:5], s18, v9, 0
	v_mov_b32_e32 v8, v7
	v_mad_u64_u32 v[8:9], s[4:5], s19, v9, v[8:9]
	v_add_u32_e32 v11, 0x55f, v230
	v_mov_b32_e32 v7, v8
	v_mad_u64_u32 v[8:9], s[4:5], s18, v11, 0
	v_mov_b32_e32 v10, v9
	v_mad_u64_u32 v[10:11], s[4:5], s19, v11, v[10:11]
	v_add_u32_e32 v13, 0x672, v230
	v_mov_b32_e32 v9, v10
	;; [unrolled: 5-line block ×30, first 2 shown]
	v_mad_u64_u32 v[78:79], s[4:5], s18, v81, 0
	v_mov_b32_e32 v80, v79
	v_lshl_add_u64 v[6:7], v[6:7], 4, v[4:5]
	v_lshl_add_u64 v[8:9], v[8:9], 4, v[4:5]
	v_mad_u64_u32 v[80:81], s[4:5], s19, v81, v[80:81]
	v_mov_b32_e32 v79, v80
	global_load_dwordx4 v[198:201], v[6:7], off
	global_load_dwordx4 v[202:205], v[8:9], off
	v_lshl_add_u64 v[6:7], v[10:11], 4, v[4:5]
	v_lshl_add_u64 v[8:9], v[12:13], 4, v[4:5]
	v_lshl_add_u64 v[10:11], v[14:15], 4, v[4:5]
	v_lshl_add_u64 v[12:13], v[16:17], 4, v[4:5]
	v_lshl_add_u64 v[14:15], v[18:19], 4, v[4:5]
	v_lshl_add_u64 v[16:17], v[20:21], 4, v[4:5]
	v_lshl_add_u64 v[18:19], v[22:23], 4, v[4:5]
	v_lshl_add_u64 v[20:21], v[24:25], 4, v[4:5]
	v_lshl_add_u64 v[22:23], v[26:27], 4, v[4:5]
	v_lshl_add_u64 v[24:25], v[32:33], 4, v[4:5]
	v_lshl_add_u64 v[26:27], v[34:35], 4, v[4:5]
	v_lshl_add_u64 v[32:33], v[44:45], 4, v[4:5]
	v_lshl_add_u64 v[34:35], v[46:47], 4, v[4:5]
	v_lshl_add_u64 v[44:45], v[48:49], 4, v[4:5]
	v_lshl_add_u64 v[46:47], v[50:51], 4, v[4:5]
	v_lshl_add_u64 v[48:49], v[52:53], 4, v[4:5]
	v_lshl_add_u64 v[50:51], v[54:55], 4, v[4:5]
	v_lshl_add_u64 v[52:53], v[56:57], 4, v[4:5]
	v_lshl_add_u64 v[54:55], v[58:59], 4, v[4:5]
	v_lshl_add_u64 v[56:57], v[60:61], 4, v[4:5]
	v_lshl_add_u64 v[58:59], v[62:63], 4, v[4:5]
	v_lshl_add_u64 v[60:61], v[64:65], 4, v[4:5]
	v_lshl_add_u64 v[62:63], v[66:67], 4, v[4:5]
	v_lshl_add_u64 v[64:65], v[68:69], 4, v[4:5]
	v_lshl_add_u64 v[66:67], v[70:71], 4, v[4:5]
	v_lshl_add_u64 v[68:69], v[72:73], 4, v[4:5]
	v_lshl_add_u64 v[70:71], v[74:75], 4, v[4:5]
	v_lshl_add_u64 v[72:73], v[76:77], 4, v[4:5]
	v_lshl_add_u64 v[4:5], v[78:79], 4, v[4:5]
	global_load_dwordx4 v[206:209], v[6:7], off
	global_load_dwordx4 v[162:165], v[8:9], off
	;; [unrolled: 1-line block ×9, first 2 shown]
                                        ; kill: killed $vgpr20_vgpr21
                                        ; kill: killed $vgpr12_vgpr13
                                        ; kill: killed $vgpr22_vgpr23
                                        ; kill: killed $vgpr18_vgpr19
                                        ; kill: killed $vgpr10_vgpr11
                                        ; kill: killed $vgpr16_vgpr17
                                        ; kill: killed $vgpr8_vgpr9
                                        ; kill: killed $vgpr14_vgpr15
                                        ; kill: killed $vgpr6_vgpr7
	global_load_dwordx4 v[148:151], v[24:25], off
	global_load_dwordx4 v[144:147], v[26:27], off
	global_load_dwordx4 v[136:139], v[32:33], off
	global_load_dwordx4 v[140:143], v[34:35], off
                                        ; kill: killed $vgpr24_vgpr25
                                        ; kill: killed $vgpr34_vgpr35
                                        ; kill: killed $vgpr32_vgpr33
                                        ; kill: killed $vgpr26_vgpr27
	global_load_dwordx4 v[152:155], v[44:45], off
	global_load_dwordx4 v[156:159], v[46:47], off
                                        ; kill: killed $vgpr46_vgpr47
                                        ; kill: killed $vgpr44_vgpr45
	global_load_dwordx4 v[104:107], v[48:49], off
	global_load_dwordx4 v[124:127], v[50:51], off
	;; [unrolled: 1-line block ×7, first 2 shown]
	s_nop 0
	global_load_dwordx4 v[58:61], v[62:63], off
	global_load_dwordx4 v[96:99], v[64:65], off
	;; [unrolled: 1-line block ×3, first 2 shown]
	s_nop 0
	global_load_dwordx4 v[62:65], v[68:69], off
	global_load_dwordx4 v[76:79], v[70:71], off
	;; [unrolled: 1-line block ×4, first 2 shown]
.LBB0_13:
	s_or_b64 exec, exec, s[0:1]
	s_waitcnt vmcnt(28)
	v_add_f64 v[4:5], v[206:207], v[28:29]
	v_add_f64 v[8:9], v[202:203], v[40:41]
	;; [unrolled: 1-line block ×4, first 2 shown]
	v_add_f64 v[10:11], v[42:43], -v[204:205]
	v_add_f64 v[14:15], v[200:201], -v[38:39]
	;; [unrolled: 1-line block ×5, first 2 shown]
	v_add_f64 v[12:13], v[12:13], v[16:17]
	v_add_f64 v[6:7], v[30:31], -v[208:209]
	v_add_f64 v[20:21], v[14:15], v[10:11]
	v_add_f64 v[0:1], v[0:1], v[12:13]
	s_mov_b32 s4, 0xaaaaaaaa
	s_mov_b32 s14, 0x37e14327
	;; [unrolled: 1-line block ×4, first 2 shown]
	v_add_f64 v[16:17], v[14:15], -v[10:11]
	v_add_f64 v[14:15], v[6:7], -v[14:15]
	;; [unrolled: 1-line block ×3, first 2 shown]
	v_add_f64 v[6:7], v[20:21], v[6:7]
	s_mov_b32 s5, 0xbff2aaaa
	v_mov_b64_e32 v[20:21], v[0:1]
	s_mov_b32 s15, 0x3fe948f6
	s_mov_b32 s11, 0x3fac98ee
	;; [unrolled: 1-line block ×6, first 2 shown]
	v_fmac_f64_e32 v[20:21], s[4:5], v[12:13]
	v_mul_f64 v[4:5], v[4:5], s[14:15]
	s_mov_b32 s13, 0x3fe77f67
	v_mul_f64 v[12:13], v[8:9], s[10:11]
	s_mov_b32 s19, 0xbfe77f67
	s_mov_b32 s18, s12
	v_mul_f64 v[16:17], v[16:17], s[26:27]
	s_mov_b32 s23, 0xbfebfeb5
	s_mov_b32 s21, 0xbfd5d0dc
	;; [unrolled: 1-line block ×3, first 2 shown]
	v_fma_f64 v[12:13], v[18:19], s[12:13], -v[12:13]
	v_fma_f64 v[18:19], v[18:19], s[18:19], -v[4:5]
	v_fmac_f64_e32 v[4:5], s[10:11], v[8:9]
	v_mul_f64 v[8:9], v[10:11], s[22:23]
	v_fma_f64 v[10:11], v[10:11], s[22:23], -v[16:17]
	v_fmac_f64_e32 v[16:17], s[20:21], v[14:15]
	s_mov_b32 s29, 0x3fd5d0dc
	s_mov_b32 s28, s20
	;; [unrolled: 1-line block ×3, first 2 shown]
	v_fma_f64 v[14:15], v[14:15], s[28:29], -v[8:9]
	v_add_f64 v[4:5], v[4:5], v[20:21]
	v_fmac_f64_e32 v[16:17], s[24:25], v[6:7]
	v_add_f64 v[8:9], v[12:13], v[20:21]
	v_add_f64 v[12:13], v[18:19], v[20:21]
	v_fmac_f64_e32 v[10:11], s[24:25], v[6:7]
	v_fmac_f64_e32 v[14:15], s[24:25], v[6:7]
	v_add_f64 v[18:19], v[16:17], v[4:5]
	v_mad_u32_u24 v67, v230, 56, 0
	v_add_f64 v[20:21], v[8:9], -v[10:11]
	v_add_f64 v[8:9], v[10:11], v[8:9]
	v_add_f64 v[10:11], v[14:15], v[12:13]
	v_add_f64 v[12:13], v[12:13], -v[14:15]
	s_waitcnt vmcnt(21)
	v_add_f64 v[14:15], v[186:187], v[182:183]
	ds_write2_b64 v67, v[0:1], v[18:19] offset1:1
	v_add_f64 v[0:1], v[178:179], v[174:175]
	v_add_f64 v[4:5], v[4:5], -v[16:17]
	v_add_f64 v[16:17], v[176:177], -v[180:181]
	ds_write2_b64 v67, v[10:11], v[20:21] offset0:2 offset1:3
	v_add_f64 v[10:11], v[170:171], v[166:167]
	v_add_f64 v[18:19], v[172:173], -v[168:169]
	ds_write2_b64 v67, v[8:9], v[12:13] offset0:4 offset1:5
	v_add_f64 v[8:9], v[0:1], v[14:15]
	v_add_f64 v[6:7], v[184:185], -v[188:189]
	v_add_f64 v[12:13], v[0:1], -v[14:15]
	;; [unrolled: 1-line block ×4, first 2 shown]
	v_add_f64 v[8:9], v[10:11], v[8:9]
	v_add_f64 v[10:11], v[18:19], v[16:17]
	v_add_f64 v[20:21], v[18:19], -v[16:17]
	v_add_f64 v[18:19], v[6:7], -v[18:19]
	;; [unrolled: 1-line block ×3, first 2 shown]
	v_add_f64 v[6:7], v[10:11], v[6:7]
	v_add_f64 v[10:11], v[162:163], v[8:9]
	v_mov_b64_e32 v[22:23], v[10:11]
	v_fmac_f64_e32 v[22:23], s[4:5], v[8:9]
	v_mul_f64 v[8:9], v[14:15], s[14:15]
	v_mul_f64 v[14:15], v[0:1], s[10:11]
	v_fma_f64 v[14:15], v[12:13], s[12:13], -v[14:15]
	v_fma_f64 v[12:13], v[12:13], s[18:19], -v[8:9]
	v_fmac_f64_e32 v[8:9], s[10:11], v[0:1]
	v_mul_f64 v[0:1], v[20:21], s[26:27]
	v_mul_f64 v[20:21], v[16:17], s[22:23]
	v_fma_f64 v[16:17], v[16:17], s[22:23], -v[0:1]
	v_fmac_f64_e32 v[0:1], s[20:21], v[18:19]
	v_fma_f64 v[18:19], v[18:19], s[28:29], -v[20:21]
	v_add_f64 v[8:9], v[8:9], v[22:23]
	v_add_f64 v[14:15], v[14:15], v[22:23]
	v_add_f64 v[12:13], v[12:13], v[22:23]
	v_fmac_f64_e32 v[0:1], s[24:25], v[6:7]
	v_fmac_f64_e32 v[16:17], s[24:25], v[6:7]
	v_fmac_f64_e32 v[18:19], s[24:25], v[6:7]
	v_add_f64 v[6:7], v[14:15], -v[16:17]
	v_add_f64 v[14:15], v[16:17], v[14:15]
	v_add_f64 v[16:17], v[18:19], v[12:13]
	v_add_f64 v[12:13], v[12:13], -v[18:19]
	v_add_f64 v[18:19], v[0:1], v[8:9]
	v_mad_i32_i24 v66, v232, 56, 0
	v_add_f64 v[0:1], v[8:9], -v[0:1]
	s_waitcnt vmcnt(14)
	v_add_f64 v[8:9], v[156:157], v[148:149]
	ds_write_b64 v67, v[4:5] offset:48
	ds_write2_b64 v66, v[10:11], v[18:19] offset1:1
	v_add_f64 v[10:11], v[152:153], v[144:145]
	ds_write2_b64 v66, v[16:17], v[6:7] offset0:2 offset1:3
	v_add_f64 v[16:17], v[140:141], v[136:137]
	ds_write2_b64 v66, v[14:15], v[12:13] offset0:4 offset1:5
	v_add_f64 v[12:13], v[10:11], v[8:9]
	v_add_f64 v[6:7], v[146:147], -v[154:155]
	v_add_f64 v[14:15], v[10:11], -v[8:9]
	;; [unrolled: 1-line block ×4, first 2 shown]
	v_add_f64 v[12:13], v[16:17], v[12:13]
	v_add_f64 v[16:17], v[142:143], -v[138:139]
	v_add_f64 v[4:5], v[150:151], -v[158:159]
	v_add_f64 v[18:19], v[16:17], v[6:7]
	v_add_f64 v[20:21], v[16:17], -v[6:7]
	v_add_f64 v[16:17], v[4:5], -v[16:17]
	;; [unrolled: 1-line block ×3, first 2 shown]
	v_add_f64 v[4:5], v[18:19], v[4:5]
	v_add_f64 v[18:19], v[132:133], v[12:13]
	v_mov_b64_e32 v[22:23], v[18:19]
	v_fmac_f64_e32 v[22:23], s[4:5], v[12:13]
	v_mul_f64 v[8:9], v[8:9], s[14:15]
	v_mul_f64 v[12:13], v[10:11], s[10:11]
	v_fma_f64 v[12:13], v[14:15], s[12:13], -v[12:13]
	v_fma_f64 v[14:15], v[14:15], s[18:19], -v[8:9]
	v_fmac_f64_e32 v[8:9], s[10:11], v[10:11]
	v_mul_f64 v[10:11], v[20:21], s[26:27]
	v_mul_f64 v[20:21], v[6:7], s[22:23]
	v_fma_f64 v[6:7], v[6:7], s[22:23], -v[10:11]
	v_fmac_f64_e32 v[10:11], s[20:21], v[16:17]
	v_fma_f64 v[16:17], v[16:17], s[28:29], -v[20:21]
	v_add_f64 v[8:9], v[8:9], v[22:23]
	v_add_f64 v[12:13], v[12:13], v[22:23]
	;; [unrolled: 1-line block ×3, first 2 shown]
	v_fmac_f64_e32 v[10:11], s[24:25], v[4:5]
	v_fmac_f64_e32 v[6:7], s[24:25], v[4:5]
	;; [unrolled: 1-line block ×3, first 2 shown]
	v_add_f64 v[4:5], v[12:13], -v[6:7]
	v_add_f64 v[6:7], v[6:7], v[12:13]
	v_add_f64 v[12:13], v[16:17], v[14:15]
	v_add_f64 v[14:15], v[14:15], -v[16:17]
	v_add_f64 v[16:17], v[10:11], v[8:9]
	v_mad_i32_i24 v236, v233, 56, 0
	ds_write_b64 v66, v[0:1] offset:48
	s_waitcnt vmcnt(7)
	v_add_f64 v[0:1], v[128:129], v[124:125]
	ds_write2_b64 v236, v[18:19], v[16:17] offset1:1
	v_add_f64 v[16:17], v[120:121], v[116:117]
	ds_write2_b64 v236, v[12:13], v[4:5] offset0:2 offset1:3
	v_add_f64 v[12:13], v[112:113], v[108:109]
	ds_write2_b64 v236, v[6:7], v[14:15] offset0:4 offset1:5
	v_add_f64 v[6:7], v[16:17], v[0:1]
	v_add_f64 v[4:5], v[118:119], -v[122:123]
	v_add_f64 v[14:15], v[16:17], -v[0:1]
	;; [unrolled: 1-line block ×4, first 2 shown]
	v_add_f64 v[6:7], v[12:13], v[6:7]
	v_add_f64 v[12:13], v[114:115], -v[110:111]
	v_add_f64 v[8:9], v[8:9], -v[10:11]
	;; [unrolled: 1-line block ×3, first 2 shown]
	v_add_f64 v[18:19], v[12:13], v[4:5]
	v_add_f64 v[20:21], v[12:13], -v[4:5]
	v_add_f64 v[12:13], v[10:11], -v[12:13]
	;; [unrolled: 1-line block ×3, first 2 shown]
	v_add_f64 v[10:11], v[18:19], v[10:11]
	v_add_f64 v[18:19], v[104:105], v[6:7]
	v_mov_b64_e32 v[22:23], v[18:19]
	v_fmac_f64_e32 v[22:23], s[4:5], v[6:7]
	v_mul_f64 v[0:1], v[0:1], s[14:15]
	v_mul_f64 v[6:7], v[16:17], s[10:11]
	v_fma_f64 v[6:7], v[14:15], s[12:13], -v[6:7]
	v_fma_f64 v[14:15], v[14:15], s[18:19], -v[0:1]
	v_fmac_f64_e32 v[0:1], s[10:11], v[16:17]
	v_mul_f64 v[16:17], v[20:21], s[26:27]
	v_mul_f64 v[20:21], v[4:5], s[22:23]
	v_fma_f64 v[4:5], v[4:5], s[22:23], -v[16:17]
	v_fmac_f64_e32 v[16:17], s[20:21], v[12:13]
	v_fma_f64 v[12:13], v[12:13], s[28:29], -v[20:21]
	v_add_f64 v[6:7], v[6:7], v[22:23]
	v_add_f64 v[14:15], v[14:15], v[22:23]
	v_fmac_f64_e32 v[4:5], s[24:25], v[10:11]
	v_fmac_f64_e32 v[12:13], s[24:25], v[10:11]
	;; [unrolled: 1-line block ×3, first 2 shown]
	v_add_f64 v[10:11], v[6:7], -v[4:5]
	v_add_f64 v[4:5], v[4:5], v[6:7]
	v_add_f64 v[6:7], v[12:13], v[14:15]
	v_mad_i32_i24 v104, v234, 56, 0
	v_add_f64 v[12:13], v[14:15], -v[12:13]
	ds_write_b64 v236, v[8:9] offset:48
	s_waitcnt vmcnt(0)
	v_add_f64 v[8:9], v[100:101], v[96:97]
	ds_write2_b64 v104, v[6:7], v[10:11] offset0:2 offset1:3
	v_add_f64 v[6:7], v[92:93], v[88:89]
	v_add_f64 v[0:1], v[0:1], v[22:23]
	;; [unrolled: 1-line block ×3, first 2 shown]
	ds_write2_b64 v104, v[4:5], v[12:13] offset0:4 offset1:5
	v_add_f64 v[4:5], v[6:7], v[8:9]
	v_add_f64 v[14:15], v[16:17], v[0:1]
	v_add_f64 v[0:1], v[0:1], -v[16:17]
	v_add_f64 v[12:13], v[6:7], -v[8:9]
	v_add_f64 v[8:9], v[8:9], -v[10:11]
	v_add_f64 v[6:7], v[10:11], -v[6:7]
	v_add_f64 v[4:5], v[10:11], v[4:5]
	v_add_f64 v[10:11], v[90:91], -v[94:95]
	v_add_f64 v[16:17], v[78:79], -v[64:65]
	ds_write2_b64 v104, v[18:19], v[14:15] offset1:1
	v_add_f64 v[14:15], v[98:99], -v[102:103]
	v_add_f64 v[18:19], v[16:17], v[10:11]
	v_add_f64 v[20:21], v[16:17], -v[10:11]
	v_add_f64 v[16:17], v[14:15], -v[16:17]
	;; [unrolled: 1-line block ×3, first 2 shown]
	v_add_f64 v[14:15], v[18:19], v[14:15]
	v_add_f64 v[18:19], v[58:59], v[4:5]
	v_mov_b64_e32 v[22:23], v[18:19]
	v_fmac_f64_e32 v[22:23], s[4:5], v[4:5]
	ds_write_b64 v104, v[0:1] offset:48
	v_mul_f64 v[0:1], v[8:9], s[14:15]
	v_mul_f64 v[4:5], v[20:21], s[26:27]
	v_fma_f64 v[8:9], v[12:13], s[18:19], -v[0:1]
	v_fmac_f64_e32 v[0:1], s[10:11], v[6:7]
	v_fma_f64 v[20:21], v[10:11], s[22:23], -v[4:5]
	v_mul_f64 v[6:7], v[6:7], s[10:11]
	v_mul_f64 v[10:11], v[10:11], s[22:23]
	v_fmac_f64_e32 v[4:5], s[20:21], v[16:17]
	v_fma_f64 v[6:7], v[12:13], s[12:13], -v[6:7]
	v_fma_f64 v[10:11], v[16:17], s[28:29], -v[10:11]
	v_add_f64 v[0:1], v[0:1], v[22:23]
	v_fmac_f64_e32 v[4:5], s[24:25], v[14:15]
	v_add_f64 v[6:7], v[6:7], v[22:23]
	v_add_f64 v[8:9], v[8:9], v[22:23]
	v_fmac_f64_e32 v[20:21], s[24:25], v[14:15]
	v_fmac_f64_e32 v[10:11], s[24:25], v[14:15]
	s_movk_i32 s33, 0xffd0
	v_mad_i32_i24 v26, v82, 56, 0
	v_add_f64 v[24:25], v[4:5], v[0:1]
	v_add_f64 v[12:13], v[6:7], -v[20:21]
	v_add_f64 v[6:7], v[20:21], v[6:7]
	v_add_f64 v[14:15], v[10:11], v[8:9]
	v_add_f64 v[20:21], v[0:1], -v[4:5]
	v_mad_i32_i24 v231, v230, s33, v67
	v_mad_i32_i24 v1, v233, s33, v236
	ds_write2_b64 v26, v[18:19], v[24:25] offset1:1
	s_load_dwordx2 s[2:3], s[2:3], 0x0
	v_add_f64 v[222:223], v[8:9], -v[10:11]
	ds_write2_b64 v26, v[14:15], v[12:13] offset0:2 offset1:3
	ds_write2_b64 v26, v[6:7], v[222:223] offset0:4 offset1:5
	ds_write_b64 v26, v[20:21] offset:48
	s_waitcnt lgkmcnt(0)
	; wave barrier
	s_waitcnt lgkmcnt(0)
	v_add_u32_e32 v105, 0x800, v231
	v_add_u32_e32 v132, 0xc00, v231
	;; [unrolled: 1-line block ×7, first 2 shown]
	v_mad_i32_i24 v0, v232, s33, v66
	ds_read_b64 v[224:225], v1
	ds_read_b64 v[226:227], v0
	ds_read_b64 v[228:229], v231 offset:14880
	ds_read2_b64 v[4:7], v231 offset1:175
	ds_read2_b64 v[214:217], v105 offset0:94 offset1:149
	ds_read2_b64 v[72:75], v132 offset0:76 offset1:141
	;; [unrolled: 1-line block ×8, first 2 shown]
	v_add_u32_e32 v244, 0x3400, v231
	v_add_u32_e32 v243, 0x400, v231
	;; [unrolled: 1-line block ×3, first 2 shown]
	v_mov_b32_e32 v0, v82
	ds_read2_b64 v[160:163], v244 offset0:86 offset1:141
	ds_read2_b64 v[84:87], v243 offset0:102 offset1:157
	;; [unrolled: 1-line block ×4, first 2 shown]
	ds_read2_b64 v[52:55], v239 offset1:55
	ds_read2_b64 v[32:35], v242 offset0:94 offset1:149
	v_accvgpr_write_b32 a2, v0
	v_mul_i32_i24_e32 v133, 56, v0
	v_cmp_gt_u32_e64 s[0:1], 10, v230
	v_mul_i32_i24_e32 v246, 0xffffffd0, v232
	v_mul_i32_i24_e32 v245, 0xffffffd0, v233
                                        ; implicit-def: $vgpr10_vgpr11
                                        ; implicit-def: $vgpr14_vgpr15
                                        ; implicit-def: $vgpr18_vgpr19
                                        ; implicit-def: $vgpr26_vgpr27
	s_and_saveexec_b64 s[30:31], s[0:1]
	s_cbranch_execz .LBB0_15
; %bb.14:
	v_mad_i32_i24 v0, v234, s33, v104
	ds_read_b64 v[222:223], v0
	v_add_u32_e32 v0, 0xa00, v231
	ds_read2_b64 v[20:23], v0 offset0:20 offset1:195
	v_add_u32_e32 v0, 0x1400, v231
	ds_read2_b64 v[24:27], v0 offset0:50 offset1:225
	ds_read2_b64 v[16:19], v240 offset0:16 offset1:191
	v_add_u32_e32 v0, 0x2a00, v231
	ds_read2_b64 v[12:15], v0 offset0:46 offset1:221
	ds_read2_b64 v[8:11], v244 offset0:76 offset1:251
.LBB0_15:
	s_or_b64 exec, exec, s[30:31]
	v_add_f64 v[0:1], v[208:209], v[30:31]
	v_add_f64 v[30:31], v[204:205], v[42:43]
	v_add_f64 v[40:41], v[40:41], -v[202:203]
	v_add_f64 v[38:39], v[200:201], v[38:39]
	v_add_f64 v[36:37], v[198:199], -v[36:37]
	;; [unrolled: 2-line block ×3, first 2 shown]
	v_add_f64 v[198:199], v[30:31], -v[0:1]
	v_add_f64 v[200:201], v[0:1], -v[38:39]
	;; [unrolled: 1-line block ×3, first 2 shown]
	v_add_f64 v[0:1], v[36:37], v[40:41]
	v_add_f64 v[38:39], v[38:39], v[42:43]
	v_add_f64 v[202:203], v[36:37], -v[40:41]
	v_add_f64 v[36:37], v[28:29], -v[36:37]
	;; [unrolled: 1-line block ×3, first 2 shown]
	v_add_f64 v[28:29], v[0:1], v[28:29]
	v_add_f64 v[0:1], v[2:3], v[38:39]
	v_mul_f64 v[2:3], v[200:201], s[14:15]
	v_mul_f64 v[42:43], v[30:31], s[10:11]
	;; [unrolled: 1-line block ×3, first 2 shown]
	v_mov_b64_e32 v[204:205], v[0:1]
	v_mul_f64 v[202:203], v[40:41], s[22:23]
	v_fmac_f64_e32 v[204:205], s[4:5], v[38:39]
	v_fma_f64 v[38:39], v[198:199], s[12:13], -v[42:43]
	v_fma_f64 v[42:43], v[198:199], s[18:19], -v[2:3]
	v_fmac_f64_e32 v[2:3], s[10:11], v[30:31]
	v_fma_f64 v[30:31], v[40:41], s[22:23], -v[200:201]
	v_fmac_f64_e32 v[200:201], s[20:21], v[36:37]
	v_fma_f64 v[36:37], v[36:37], s[28:29], -v[202:203]
	v_add_f64 v[40:41], v[2:3], v[204:205]
	v_add_f64 v[38:39], v[38:39], v[204:205]
	v_fmac_f64_e32 v[200:201], s[24:25], v[28:29]
	v_fmac_f64_e32 v[30:31], s[24:25], v[28:29]
	v_fmac_f64_e32 v[36:37], s[24:25], v[28:29]
	v_add_f64 v[28:29], v[40:41], -v[200:201]
	v_add_f64 v[198:199], v[30:31], v[38:39]
	v_add_f64 v[30:31], v[38:39], -v[30:31]
	v_add_f64 v[38:39], v[200:201], v[40:41]
	v_add_f64 v[40:41], v[188:189], v[184:185]
	;; [unrolled: 1-line block ×11, first 2 shown]
	v_add_f64 v[166:167], v[170:171], -v[166:167]
	v_add_f64 v[170:171], v[176:177], v[40:41]
	v_add_f64 v[138:139], v[142:143], v[138:139]
	v_add_f64 v[136:137], v[140:141], -v[136:137]
	v_add_f64 v[140:141], v[146:147], v[150:151]
	v_add_f64 v[110:111], v[114:115], v[110:111]
	v_add_f64 v[108:109], v[112:113], -v[108:109]
	v_add_f64 v[112:113], v[118:119], v[126:127]
	v_add_f64 v[88:89], v[88:89], -v[92:93]
	;; [unrolled: 2-line block ×5, first 2 shown]
	v_add_f64 v[174:175], v[174:175], -v[178:179]
	v_add_f64 v[172:173], v[176:177], -v[40:41]
	v_add_f64 v[40:41], v[40:41], -v[168:169]
	v_add_f64 v[176:177], v[168:169], -v[176:177]
	v_add_f64 v[168:169], v[168:169], v[170:171]
	v_add_f64 v[148:149], v[148:149], -v[156:157]
	v_add_f64 v[144:145], v[144:145], -v[152:153]
	v_add_f64 v[142:143], v[146:147], -v[150:151]
	v_add_f64 v[150:151], v[150:151], -v[138:139]
	v_add_f64 v[146:147], v[138:139], -v[146:147]
	v_add_f64 v[138:139], v[138:139], v[140:141]
	v_add_f64 v[124:125], v[124:125], -v[128:129]
	;; [unrolled: 6-line block ×3, first 2 shown]
	v_add_f64 v[78:79], v[90:91], -v[98:99]
	v_add_f64 v[92:93], v[98:99], -v[64:65]
	;; [unrolled: 1-line block ×3, first 2 shown]
	v_add_f64 v[94:95], v[62:63], v[88:89]
	v_add_f64 v[64:65], v[64:65], v[76:77]
	;; [unrolled: 1-line block ×3, first 2 shown]
	v_add_f64 v[180:181], v[166:167], -v[174:175]
	v_add_f64 v[174:175], v[174:175], -v[42:43]
	v_add_f64 v[164:165], v[164:165], v[168:169]
	v_add_f64 v[152:153], v[136:137], v[144:145]
	v_add_f64 v[154:155], v[136:137], -v[144:145]
	v_add_f64 v[144:145], v[144:145], -v[148:149]
	v_add_f64 v[134:135], v[134:135], v[138:139]
	v_add_f64 v[122:123], v[108:109], v[116:117]
	v_add_f64 v[126:127], v[108:109], -v[116:117]
	v_add_f64 v[116:117], v[116:117], -v[124:125]
	v_add_f64 v[106:107], v[106:107], v[110:111]
	v_add_f64 v[98:99], v[62:63], -v[88:89]
	v_add_f64 v[88:89], v[88:89], -v[96:97]
	v_add_f64 v[76:77], v[94:95], v[96:97]
	v_add_f64 v[94:95], v[60:61], v[64:65]
	v_add_f64 v[166:167], v[42:43], -v[166:167]
	v_add_f64 v[42:43], v[178:179], v[42:43]
	v_mul_f64 v[40:41], v[40:41], s[14:15]
	v_mul_f64 v[170:171], v[176:177], s[10:11]
	v_mul_f64 v[178:179], v[180:181], s[26:27]
	v_mul_f64 v[180:181], v[174:175], s[22:23]
	v_mov_b64_e32 v[182:183], v[164:165]
	v_add_f64 v[136:137], v[148:149], -v[136:137]
	v_add_f64 v[140:141], v[152:153], v[148:149]
	v_mul_f64 v[148:149], v[150:151], s[14:15]
	v_mul_f64 v[150:151], v[146:147], s[10:11]
	v_mul_f64 v[152:153], v[154:155], s[26:27]
	v_mul_f64 v[154:155], v[144:145], s[22:23]
	v_mov_b64_e32 v[156:157], v[134:135]
	;; [unrolled: 7-line block ×3, first 2 shown]
	v_add_f64 v[62:63], v[96:97], -v[62:63]
	v_mul_f64 v[60:61], v[92:93], s[14:15]
	v_mul_f64 v[92:93], v[90:91], s[10:11]
	;; [unrolled: 1-line block ×4, first 2 shown]
	v_mov_b64_e32 v[100:101], v[94:95]
	v_fmac_f64_e32 v[182:183], s[4:5], v[168:169]
	v_fma_f64 v[168:169], v[172:173], s[12:13], -v[170:171]
	v_fma_f64 v[170:171], v[172:173], s[18:19], -v[40:41]
	v_fmac_f64_e32 v[40:41], s[10:11], v[176:177]
	v_fma_f64 v[172:173], v[174:175], s[22:23], -v[178:179]
	v_fmac_f64_e32 v[178:179], s[20:21], v[166:167]
	v_fma_f64 v[166:167], v[166:167], s[28:29], -v[180:181]
	v_fmac_f64_e32 v[156:157], s[4:5], v[138:139]
	v_fma_f64 v[138:139], v[142:143], s[12:13], -v[150:151]
	v_fma_f64 v[142:143], v[142:143], s[18:19], -v[148:149]
	v_fmac_f64_e32 v[148:149], s[10:11], v[146:147]
	v_fma_f64 v[144:145], v[144:145], s[22:23], -v[152:153]
	v_fmac_f64_e32 v[152:153], s[20:21], v[136:137]
	v_fma_f64 v[136:137], v[136:137], s[28:29], -v[154:155]
	;; [unrolled: 7-line block ×4, first 2 shown]
	v_add_f64 v[40:41], v[40:41], v[182:183]
	v_add_f64 v[168:169], v[168:169], v[182:183]
	v_add_f64 v[170:171], v[170:171], v[182:183]
	v_fmac_f64_e32 v[178:179], s[24:25], v[42:43]
	v_fmac_f64_e32 v[172:173], s[24:25], v[42:43]
	v_fmac_f64_e32 v[166:167], s[24:25], v[42:43]
	v_add_f64 v[146:147], v[148:149], v[156:157]
	v_add_f64 v[138:139], v[138:139], v[156:157]
	v_add_f64 v[142:143], v[142:143], v[156:157]
	v_fmac_f64_e32 v[152:153], s[24:25], v[140:141]
	v_fmac_f64_e32 v[144:145], s[24:25], v[140:141]
	v_fmac_f64_e32 v[136:137], s[24:25], v[140:141]
	;; [unrolled: 6-line block ×4, first 2 shown]
	v_add_f64 v[42:43], v[40:41], -v[178:179]
	v_add_f64 v[174:175], v[170:171], -v[166:167]
	v_add_f64 v[176:177], v[172:173], v[168:169]
	v_add_f64 v[168:169], v[168:169], -v[172:173]
	v_add_f64 v[166:167], v[166:167], v[170:171]
	v_add_f64 v[40:41], v[178:179], v[40:41]
	v_add_f64 v[148:149], v[146:147], -v[152:153]
	v_add_f64 v[150:151], v[142:143], -v[136:137]
	v_add_f64 v[154:155], v[144:145], v[138:139]
	v_add_f64 v[138:139], v[138:139], -v[144:145]
	v_add_f64 v[136:137], v[136:137], v[142:143]
	v_add_f64 v[142:143], v[152:153], v[146:147]
	;; [unrolled: 6-line block ×3, first 2 shown]
	v_add_f64 v[76:77], v[60:61], -v[96:97]
	v_add_f64 v[90:91], v[78:79], -v[62:63]
	v_add_f64 v[92:93], v[88:89], v[64:65]
	s_waitcnt lgkmcnt(0)
	; wave barrier
	s_waitcnt lgkmcnt(0)
	ds_write2_b64 v67, v[0:1], v[28:29] offset1:1
	ds_write2_b64 v67, v[2:3], v[198:199] offset0:2 offset1:3
	ds_write2_b64 v67, v[30:31], v[36:37] offset0:4 offset1:5
	ds_write_b64 v67, v[38:39] offset:48
	ds_write2_b64 v66, v[164:165], v[42:43] offset1:1
	ds_write2_b64 v66, v[174:175], v[176:177] offset0:2 offset1:3
	ds_write2_b64 v66, v[168:169], v[166:167] offset0:4 offset1:5
	ds_write_b64 v66, v[40:41] offset:48
	;; [unrolled: 4-line block ×4, first 2 shown]
	v_add_u32_e32 v0, 0, v133
	v_add_f64 v[64:65], v[64:65], -v[88:89]
	v_add_f64 v[140:141], v[62:63], v[78:79]
	v_add_f64 v[60:61], v[96:97], v[60:61]
	ds_write2_b64 v0, v[94:95], v[76:77] offset1:1
	ds_write2_b64 v0, v[90:91], v[92:93] offset0:2 offset1:3
	ds_write2_b64 v0, v[64:65], v[140:141] offset0:4 offset1:5
	ds_write_b64 v0, v[60:61] offset:48
	s_waitcnt lgkmcnt(0)
	; wave barrier
	s_waitcnt lgkmcnt(0)
	ds_read2_b64 v[0:3], v231 offset1:175
	ds_read2_b64 v[136:139], v105 offset0:94 offset1:149
	ds_read2_b64 v[108:111], v132 offset0:76 offset1:141
	;; [unrolled: 1-line block ×12, first 2 shown]
	ds_read2_b64 v[96:99], v239 offset1:55
	ds_read2_b64 v[76:79], v242 offset0:94 offset1:149
	v_add_u32_e32 v28, v66, v246
	v_add_u32_e32 v29, v236, v245
	ds_read_b64 v[142:143], v29
	ds_read_b64 v[144:145], v28
	ds_read_b64 v[172:173], v231 offset:14880
	v_accvgpr_write_b32 a4, v28
	v_lshl_add_u32 v28, v234, 3, 0
	v_accvgpr_write_b32 a5, v29
	v_accvgpr_write_b32 a3, v28
                                        ; implicit-def: $vgpr30_vgpr31
                                        ; implicit-def: $vgpr38_vgpr39
                                        ; implicit-def: $vgpr42_vgpr43
                                        ; implicit-def: $vgpr66_vgpr67
	s_and_saveexec_b64 s[4:5], s[0:1]
	s_cbranch_execz .LBB0_17
; %bb.16:
	v_accvgpr_read_b32 v28, a3
	ds_read_b64 v[140:141], v28
	v_add_u32_e32 v28, 0xa00, v231
	ds_read2_b64 v[60:63], v28 offset0:20 offset1:195
	v_add_u32_e32 v28, 0x1400, v231
	ds_read2_b64 v[64:67], v28 offset0:50 offset1:225
	;; [unrolled: 2-line block ×5, first 2 shown]
.LBB0_17:
	s_or_b64 exec, exec, s[4:5]
	v_mov_b32_e32 v174, 37
	v_mul_lo_u16_sdwa v146, v230, v174 dst_sel:DWORD dst_unused:UNUSED_PAD src0_sel:BYTE_0 src1_sel:DWORD
	v_sub_u16_sdwa v147, v230, v146 dst_sel:DWORD dst_unused:UNUSED_PAD src0_sel:DWORD src1_sel:BYTE_1
	v_lshrrev_b16_e32 v147, 1, v147
	v_and_b32_e32 v147, 0x7f, v147
	v_add_u16_sdwa v146, v147, v146 dst_sel:DWORD dst_unused:UNUSED_PAD src0_sel:DWORD src1_sel:BYTE_1
	v_lshrrev_b16_e32 v202, 2, v146
	v_mul_lo_u16_e32 v146, 7, v202
	v_sub_u16_e32 v203, v230, v146
	v_mov_b32_e32 v175, 10
	v_mul_u32_u24_sdwa v146, v203, v175 dst_sel:DWORD dst_unused:UNUSED_PAD src0_sel:BYTE_0 src1_sel:DWORD
	v_lshlrev_b32_e32 v180, 4, v146
	global_load_dwordx4 v[156:159], v180, s[8:9] offset:48
	global_load_dwordx4 v[164:167], v180, s[8:9] offset:32
	;; [unrolled: 1-line block ×3, first 2 shown]
	global_load_dwordx4 v[146:149], v180, s[8:9]
	s_mov_b32 s4, 0xf8bb580b
	s_mov_b32 s10, 0x8eee2c13
	s_mov_b32 s14, 0x43842ef
	s_mov_b32 s22, 0xbb3a28a1
	s_mov_b32 s26, 0xfd768dbf
	s_mov_b32 s5, 0xbfe14ced
	s_mov_b32 s12, 0x8764f0ba
	s_mov_b32 s11, 0xbfed1bb4
	s_mov_b32 s18, 0xd9c712b6
	s_mov_b32 s15, 0xbfefac9e
	s_mov_b32 s20, 0x640f44db
	s_mov_b32 s23, 0xbfe82f19
	s_mov_b32 s24, 0x7f775887
	s_mov_b32 s27, 0xbfd207e7
	s_mov_b32 s28, 0x9bcd5057
	s_mov_b32 s13, 0x3feaeb8c
	s_mov_b32 s19, 0x3fda9628
	s_mov_b32 s21, 0xbfc2375f
	s_mov_b32 s25, 0xbfe4f49e
	s_mov_b32 s29, 0xbfeeb42a
	s_mov_b32 s35, 0x3fd207e7
	s_mov_b32 s34, s26
	s_mov_b32 s31, 0x3fefac9e
	s_mov_b32 s30, s14
	s_mov_b32 s37, 0x3fe14ced
	s_mov_b32 s36, s4
	s_mov_b32 s39, 0x3fed1bb4
	s_mov_b32 s38, s10
	v_mov_b32_e32 v205, v232
	v_accvgpr_write_b32 a0, v233
	v_accvgpr_write_b32 a1, v234
	s_waitcnt vmcnt(0) lgkmcnt(14)
	v_mul_f64 v[152:153], v[2:3], v[148:149]
	v_fmac_f64_e32 v[152:153], v[6:7], v[146:147]
	v_mul_f64 v[6:7], v[6:7], v[148:149]
	v_fma_f64 v[154:155], v[2:3], v[146:147], -v[6:7]
	v_mul_f64 v[2:3], v[214:215], v[170:171]
	v_fma_f64 v[150:151], v[136:137], v[168:169], -v[2:3]
	v_mul_f64 v[2:3], v[74:75], v[166:167]
	v_mul_f64 v[148:149], v[136:137], v[170:171]
	;; [unrolled: 1-line block ×3, first 2 shown]
	v_fma_f64 v[146:147], v[110:111], v[164:165], -v[2:3]
	v_mul_f64 v[110:111], v[132:133], v[158:159]
	v_mul_f64 v[2:3], v[210:211], v[158:159]
	v_fmac_f64_e32 v[148:149], v[214:215], v[168:169]
	v_fmac_f64_e32 v[136:137], v[74:75], v[164:165]
	;; [unrolled: 1-line block ×3, first 2 shown]
	v_fma_f64 v[132:133], v[132:133], v[156:157], -v[2:3]
	global_load_dwordx4 v[156:159], v180, s[8:9] offset:112
	global_load_dwordx4 v[164:167], v180, s[8:9] offset:96
	;; [unrolled: 1-line block ×4, first 2 shown]
	s_waitcnt vmcnt(1)
	v_mul_f64 v[74:75], v[194:195], v[170:171]
	s_waitcnt vmcnt(0)
	v_mul_f64 v[6:7], v[70:71], v[178:179]
	s_waitcnt lgkmcnt(13)
	v_mul_f64 v[2:3], v[106:107], v[178:179]
	v_fma_f64 v[6:7], v[106:107], v[176:177], -v[6:7]
	s_waitcnt lgkmcnt(11)
	v_mul_f64 v[106:107], v[94:95], v[166:167]
	v_fmac_f64_e32 v[106:107], v[50:51], v[164:165]
	v_mul_f64 v[50:51], v[50:51], v[166:167]
	v_fmac_f64_e32 v[2:3], v[70:71], v[176:177]
	v_mul_f64 v[70:71], v[128:129], v[170:171]
	v_fma_f64 v[74:75], v[128:129], v[168:169], -v[74:75]
	v_fma_f64 v[50:51], v[94:95], v[164:165], -v[50:51]
	s_waitcnt lgkmcnt(10)
	v_mul_f64 v[94:95], v[124:125], v[158:159]
	v_mul_f64 v[128:129], v[190:191], v[158:159]
	v_fmac_f64_e32 v[94:95], v[190:191], v[156:157]
	v_fma_f64 v[124:125], v[124:125], v[156:157], -v[128:129]
	global_load_dwordx4 v[156:159], v180, s[8:9] offset:144
	global_load_dwordx4 v[164:167], v180, s[8:9] offset:128
	v_fmac_f64_e32 v[70:71], v[194:195], v[168:169]
	s_waitcnt vmcnt(0) lgkmcnt(9)
	v_mul_f64 v[128:129], v[90:91], v[166:167]
	v_fmac_f64_e32 v[128:129], v[46:47], v[164:165]
	v_mul_f64 v[46:47], v[46:47], v[166:167]
	v_fma_f64 v[46:47], v[90:91], v[164:165], -v[46:47]
	s_waitcnt lgkmcnt(8)
	v_mul_f64 v[90:91], v[120:121], v[158:159]
	v_mul_f64 v[158:159], v[160:161], v[158:159]
	v_fmac_f64_e32 v[90:91], v[160:161], v[156:157]
	v_fma_f64 v[120:121], v[120:121], v[156:157], -v[158:159]
	v_mul_lo_u16_sdwa v156, v232, v174 dst_sel:DWORD dst_unused:UNUSED_PAD src0_sel:BYTE_0 src1_sel:DWORD
	v_sub_u16_sdwa v157, v232, v156 dst_sel:DWORD dst_unused:UNUSED_PAD src0_sel:DWORD src1_sel:BYTE_1
	v_lshrrev_b16_e32 v157, 1, v157
	v_and_b32_e32 v157, 0x7f, v157
	v_add_u16_sdwa v156, v157, v156 dst_sel:DWORD dst_unused:UNUSED_PAD src0_sel:DWORD src1_sel:BYTE_1
	v_lshrrev_b16_e32 v209, 2, v156
	v_mul_lo_u16_e32 v156, 7, v209
	v_sub_u16_e32 v210, v232, v156
	v_mul_u32_u24_sdwa v156, v210, v175 dst_sel:DWORD dst_unused:UNUSED_PAD src0_sel:BYTE_0 src1_sel:DWORD
	v_lshlrev_b32_e32 v188, 4, v156
	global_load_dwordx4 v[164:167], v188, s[8:9] offset:48
	global_load_dwordx4 v[168:171], v188, s[8:9] offset:32
	;; [unrolled: 1-line block ×3, first 2 shown]
	global_load_dwordx4 v[180:183], v188, s[8:9]
	s_waitcnt vmcnt(1)
	v_mul_f64 v[156:157], v[138:139], v[178:179]
	s_waitcnt vmcnt(0) lgkmcnt(7)
	v_mul_f64 v[158:159], v[116:117], v[182:183]
	v_fmac_f64_e32 v[158:159], v[84:85], v[180:181]
	v_mul_f64 v[84:85], v[84:85], v[182:183]
	v_fma_f64 v[160:161], v[116:117], v[180:181], -v[84:85]
	s_waitcnt lgkmcnt(6)
	v_mul_f64 v[116:117], v[112:113], v[170:171]
	v_mul_f64 v[84:85], v[216:217], v[178:179]
	v_fmac_f64_e32 v[116:117], v[80:81], v[168:169]
	v_mul_f64 v[80:81], v[80:81], v[170:171]
	v_fmac_f64_e32 v[156:157], v[216:217], v[176:177]
	v_fma_f64 v[138:139], v[138:139], v[176:177], -v[84:85]
	v_fma_f64 v[112:113], v[112:113], v[168:169], -v[80:81]
	v_mul_f64 v[80:81], v[134:135], v[166:167]
	v_mul_f64 v[84:85], v[212:213], v[166:167]
	global_load_dwordx4 v[166:169], v188, s[8:9] offset:112
	global_load_dwordx4 v[176:179], v188, s[8:9] offset:96
	;; [unrolled: 1-line block ×4, first 2 shown]
	v_fma_f64 v[84:85], v[134:135], v[164:165], -v[84:85]
	v_fmac_f64_e32 v[80:81], v[212:213], v[164:165]
	s_waitcnt vmcnt(1)
	v_mul_f64 v[164:165], v[196:197], v[182:183]
	s_waitcnt vmcnt(0) lgkmcnt(5)
	v_mul_f64 v[134:135], v[100:101], v[186:187]
	v_fmac_f64_e32 v[134:135], v[56:57], v[184:185]
	v_mul_f64 v[56:57], v[56:57], v[186:187]
	v_fma_f64 v[56:57], v[100:101], v[184:185], -v[56:57]
	v_mul_f64 v[100:101], v[130:131], v[182:183]
	v_fma_f64 v[130:131], v[130:131], v[180:181], -v[164:165]
	s_waitcnt lgkmcnt(4)
	v_mul_f64 v[164:165], v[96:97], v[178:179]
	v_fmac_f64_e32 v[164:165], v[52:53], v[176:177]
	v_mul_f64 v[52:53], v[52:53], v[178:179]
	v_fma_f64 v[52:53], v[96:97], v[176:177], -v[52:53]
	v_mul_f64 v[96:97], v[126:127], v[168:169]
	v_mul_f64 v[168:169], v[192:193], v[168:169]
	v_fma_f64 v[126:127], v[126:127], v[166:167], -v[168:169]
	global_load_dwordx4 v[176:179], v188, s[8:9] offset:144
	global_load_dwordx4 v[168:171], v188, s[8:9] offset:128
	v_fmac_f64_e32 v[96:97], v[192:193], v[166:167]
	v_fmac_f64_e32 v[100:101], v[196:197], v[180:181]
	s_waitcnt vmcnt(0) lgkmcnt(3)
	v_mul_f64 v[166:167], v[76:77], v[170:171]
	v_fmac_f64_e32 v[166:167], v[32:33], v[168:169]
	v_mul_f64 v[32:33], v[32:33], v[170:171]
	v_fma_f64 v[168:169], v[76:77], v[168:169], -v[32:33]
	v_mul_f64 v[32:33], v[162:163], v[178:179]
	v_mul_f64 v[170:171], v[122:123], v[178:179]
	v_fma_f64 v[122:123], v[122:123], v[176:177], -v[32:33]
	v_mul_lo_u16_sdwa v32, v233, v174 dst_sel:DWORD dst_unused:UNUSED_PAD src0_sel:BYTE_0 src1_sel:DWORD
	v_sub_u16_sdwa v33, v233, v32 dst_sel:DWORD dst_unused:UNUSED_PAD src0_sel:DWORD src1_sel:BYTE_1
	v_lshrrev_b16_e32 v33, 1, v33
	v_and_b32_e32 v33, 0x7f, v33
	v_add_u16_sdwa v32, v33, v32 dst_sel:DWORD dst_unused:UNUSED_PAD src0_sel:DWORD src1_sel:BYTE_1
	v_lshrrev_b16_e32 v211, 2, v32
	v_mul_lo_u16_e32 v32, 7, v211
	v_sub_u16_e32 v212, v233, v32
	v_mul_u32_u24_sdwa v32, v212, v175 dst_sel:DWORD dst_unused:UNUSED_PAD src0_sel:BYTE_0 src1_sel:DWORD
	v_fmac_f64_e32 v[170:171], v[162:163], v[176:177]
	v_lshlrev_b32_e32 v176, 4, v32
	global_load_dwordx4 v[178:181], v176, s[8:9] offset:48
	global_load_dwordx4 v[182:185], v176, s[8:9] offset:32
	;; [unrolled: 1-line block ×3, first 2 shown]
	global_load_dwordx4 v[190:193], v176, s[8:9]
	s_waitcnt vmcnt(0)
	v_mul_f64 v[32:33], v[86:87], v[192:193]
	v_mul_f64 v[162:163], v[118:119], v[192:193]
	v_fma_f64 v[118:119], v[118:119], v[190:191], -v[32:33]
	v_mul_f64 v[32:33], v[72:73], v[188:189]
	v_fmac_f64_e32 v[162:163], v[86:87], v[190:191]
	v_mul_f64 v[86:87], v[108:109], v[188:189]
	v_fma_f64 v[108:109], v[108:109], v[186:187], -v[32:33]
	v_mul_f64 v[32:33], v[82:83], v[184:185]
	v_fma_f64 v[76:77], v[114:115], v[182:183], -v[32:33]
	v_mul_f64 v[32:33], v[104:105], v[180:181]
	v_fmac_f64_e32 v[86:87], v[72:73], v[186:187]
	v_mul_f64 v[72:73], v[114:115], v[184:185]
	v_fmac_f64_e32 v[32:33], v[68:69], v[178:179]
	;; [unrolled: 2-line block ×3, first 2 shown]
	v_fma_f64 v[68:69], v[104:105], v[178:179], -v[68:69]
	global_load_dwordx4 v[178:181], v176, s[8:9] offset:112
	global_load_dwordx4 v[182:185], v176, s[8:9] offset:96
	;; [unrolled: 1-line block ×4, first 2 shown]
	s_waitcnt vmcnt(0)
	v_mul_f64 v[82:83], v[102:103], v[192:193]
	v_fmac_f64_e32 v[82:83], v[58:59], v[190:191]
	v_mul_f64 v[58:59], v[58:59], v[192:193]
	v_fma_f64 v[58:59], v[102:103], v[190:191], -v[58:59]
	v_mul_f64 v[102:103], v[92:93], v[188:189]
	v_fmac_f64_e32 v[102:103], v[48:49], v[186:187]
	v_mul_f64 v[48:49], v[48:49], v[188:189]
	v_fma_f64 v[48:49], v[92:93], v[186:187], -v[48:49]
	;; [unrolled: 4-line block ×4, first 2 shown]
	global_load_dwordx4 v[178:181], v176, s[8:9] offset:144
	global_load_dwordx4 v[182:185], v176, s[8:9] offset:128
	s_waitcnt vmcnt(1) lgkmcnt(0)
	v_mul_f64 v[190:191], v[172:173], v[180:181]
	s_waitcnt vmcnt(0)
	v_mul_f64 v[188:189], v[78:79], v[184:185]
	v_fmac_f64_e32 v[188:189], v[34:35], v[182:183]
	v_mul_f64 v[34:35], v[34:35], v[184:185]
	v_fma_f64 v[34:35], v[78:79], v[182:183], -v[34:35]
	v_mul_f64 v[78:79], v[228:229], v[180:181]
	v_fma_f64 v[192:193], v[172:173], v[178:179], -v[78:79]
	v_mul_lo_u16_sdwa v78, v234, v174 dst_sel:DWORD dst_unused:UNUSED_PAD src0_sel:BYTE_0 src1_sel:DWORD
	v_sub_u16_sdwa v79, v234, v78 dst_sel:DWORD dst_unused:UNUSED_PAD src0_sel:DWORD src1_sel:BYTE_1
	v_lshrrev_b16_e32 v79, 1, v79
	v_and_b32_e32 v79, 0x7f, v79
	v_add_u16_sdwa v78, v79, v78 dst_sel:DWORD dst_unused:UNUSED_PAD src0_sel:DWORD src1_sel:BYTE_1
	v_lshrrev_b16_e32 v204, 2, v78
	v_mul_lo_u16_e32 v78, 7, v204
	v_sub_u16_e32 v208, v234, v78
	v_mul_u32_u24_sdwa v78, v208, v175 dst_sel:DWORD dst_unused:UNUSED_PAD src0_sel:BYTE_0 src1_sel:DWORD
	v_lshlrev_b32_e32 v198, 4, v78
	global_load_dwordx4 v[172:175], v198, s[8:9] offset:48
	global_load_dwordx4 v[184:187], v198, s[8:9] offset:32
	;; [unrolled: 1-line block ×3, first 2 shown]
	global_load_dwordx4 v[180:183], v198, s[8:9]
	v_fmac_f64_e32 v[190:191], v[228:229], v[178:179]
	s_waitcnt vmcnt(2)
	v_mul_f64 v[78:79], v[64:65], v[186:187]
	s_waitcnt vmcnt(1)
	v_mul_f64 v[88:89], v[62:63], v[196:197]
	;; [unrolled: 2-line block ×3, first 2 shown]
	v_fmac_f64_e32 v[178:179], v[20:21], v[180:181]
	v_mul_f64 v[20:21], v[20:21], v[182:183]
	v_fma_f64 v[182:183], v[60:61], v[180:181], -v[20:21]
	v_mul_f64 v[20:21], v[22:23], v[196:197]
	v_fma_f64 v[104:105], v[62:63], v[194:195], -v[20:21]
	;; [unrolled: 2-line block ×3, first 2 shown]
	v_accvgpr_write_b32 a8, v20
	v_accvgpr_write_b32 a9, v21
	v_mul_f64 v[20:21], v[26:27], v[174:175]
	v_fma_f64 v[20:21], v[66:67], v[172:173], -v[20:21]
	v_mul_f64 v[60:61], v[66:67], v[174:175]
	v_accvgpr_write_b32 a6, v20
	v_fmac_f64_e32 v[88:89], v[22:23], v[194:195]
	v_fmac_f64_e32 v[78:79], v[24:25], v[184:185]
	;; [unrolled: 1-line block ×3, first 2 shown]
	v_accvgpr_write_b32 a7, v21
	global_load_dwordx4 v[20:23], v198, s[8:9] offset:112
	global_load_dwordx4 v[24:27], v198, s[8:9] offset:96
	;; [unrolled: 1-line block ×4, first 2 shown]
	s_waitcnt vmcnt(1)
	v_mul_f64 v[172:173], v[42:43], v[176:177]
	s_waitcnt vmcnt(0)
	v_mul_f64 v[66:67], v[40:41], v[186:187]
	v_fmac_f64_e32 v[66:67], v[16:17], v[184:185]
	v_mul_f64 v[16:17], v[16:17], v[186:187]
	v_fma_f64 v[114:115], v[40:41], v[184:185], -v[16:17]
	v_mul_f64 v[16:17], v[18:19], v[176:177]
	v_mul_f64 v[176:177], v[36:37], v[26:27]
	v_fmac_f64_e32 v[176:177], v[12:13], v[24:25]
	v_mul_f64 v[12:13], v[12:13], v[26:27]
	v_fma_f64 v[180:181], v[36:37], v[24:25], -v[12:13]
	v_mul_f64 v[184:185], v[38:39], v[22:23]
	v_mul_f64 v[12:13], v[14:15], v[22:23]
	v_fmac_f64_e32 v[172:173], v[18:19], v[174:175]
	v_fma_f64 v[174:175], v[42:43], v[174:175], -v[16:17]
	v_fmac_f64_e32 v[184:185], v[14:15], v[20:21]
	v_fma_f64 v[186:187], v[38:39], v[20:21], -v[12:13]
	global_load_dwordx4 v[12:15], v198, s[8:9] offset:144
	global_load_dwordx4 v[16:19], v198, s[8:9] offset:128
	v_add_f64 v[40:41], v[6:7], -v[74:75]
	s_waitcnt lgkmcnt(0)
	; wave barrier
	s_waitcnt vmcnt(1)
	v_mul_f64 v[198:199], v[30:31], v[14:15]
	s_waitcnt vmcnt(0)
	v_mul_f64 v[194:195], v[28:29], v[18:19]
	v_fmac_f64_e32 v[194:195], v[8:9], v[16:17]
	v_mul_f64 v[8:9], v[8:9], v[18:19]
	v_fma_f64 v[196:197], v[28:29], v[16:17], -v[8:9]
	v_mul_f64 v[8:9], v[10:11], v[14:15]
	v_fmac_f64_e32 v[198:199], v[10:11], v[12:13]
	v_fma_f64 v[200:201], v[30:31], v[12:13], -v[8:9]
	v_add_f64 v[12:13], v[154:155], -v[120:121]
	v_add_f64 v[10:11], v[152:153], v[90:91]
	v_mul_f64 v[14:15], v[12:13], s[4:5]
	v_mul_f64 v[18:19], v[12:13], s[10:11]
	;; [unrolled: 1-line block ×5, first 2 shown]
	v_fma_f64 v[16:17], s[12:13], v[10:11], v[14:15]
	v_fma_f64 v[14:15], v[10:11], s[12:13], -v[14:15]
	v_fma_f64 v[20:21], s[18:19], v[10:11], v[18:19]
	v_fma_f64 v[18:19], v[10:11], s[18:19], -v[18:19]
	;; [unrolled: 2-line block ×5, first 2 shown]
	v_add_f64 v[12:13], v[150:151], -v[46:47]
	v_add_f64 v[8:9], v[4:5], v[152:153]
	v_add_f64 v[16:17], v[4:5], v[16:17]
	;; [unrolled: 1-line block ×12, first 2 shown]
	v_mul_f64 v[36:37], v[12:13], s[10:11]
	v_fma_f64 v[38:39], s[18:19], v[10:11], v[36:37]
	v_fma_f64 v[36:37], v[10:11], s[18:19], -v[36:37]
	v_add_f64 v[14:15], v[36:37], v[14:15]
	v_mul_f64 v[36:37], v[12:13], s[22:23]
	v_add_f64 v[16:17], v[38:39], v[16:17]
	v_fma_f64 v[38:39], s[24:25], v[10:11], v[36:37]
	v_fma_f64 v[36:37], v[10:11], s[24:25], -v[36:37]
	v_add_f64 v[18:19], v[36:37], v[18:19]
	v_mul_f64 v[36:37], v[12:13], s[34:35]
	v_add_f64 v[20:21], v[38:39], v[20:21]
	;; [unrolled: 5-line block ×3, first 2 shown]
	v_fma_f64 v[38:39], s[20:21], v[10:11], v[36:37]
	v_fma_f64 v[36:37], v[10:11], s[20:21], -v[36:37]
	v_mul_f64 v[12:13], v[12:13], s[36:37]
	v_add_f64 v[26:27], v[36:37], v[26:27]
	v_fma_f64 v[36:37], s[12:13], v[10:11], v[12:13]
	v_fma_f64 v[10:11], v[10:11], s[12:13], -v[12:13]
	v_add_f64 v[12:13], v[146:147], -v[124:125]
	v_add_f64 v[30:31], v[36:37], v[30:31]
	v_add_f64 v[4:5], v[10:11], v[4:5]
	;; [unrolled: 1-line block ×3, first 2 shown]
	v_mul_f64 v[36:37], v[12:13], s[14:15]
	v_add_f64 v[28:29], v[38:39], v[28:29]
	v_fma_f64 v[38:39], s[20:21], v[10:11], v[36:37]
	v_fma_f64 v[36:37], v[10:11], s[20:21], -v[36:37]
	v_add_f64 v[14:15], v[36:37], v[14:15]
	v_mul_f64 v[36:37], v[12:13], s[34:35]
	v_add_f64 v[16:17], v[38:39], v[16:17]
	v_fma_f64 v[38:39], s[28:29], v[10:11], v[36:37]
	v_fma_f64 v[36:37], v[10:11], s[28:29], -v[36:37]
	v_add_f64 v[18:19], v[36:37], v[18:19]
	;; [unrolled: 5-line block ×3, first 2 shown]
	v_mul_f64 v[36:37], v[12:13], s[4:5]
	v_add_f64 v[24:25], v[38:39], v[24:25]
	v_fma_f64 v[38:39], s[12:13], v[10:11], v[36:37]
	v_fma_f64 v[36:37], v[10:11], s[12:13], -v[36:37]
	v_mul_f64 v[12:13], v[12:13], s[22:23]
	v_add_f64 v[26:27], v[36:37], v[26:27]
	v_fma_f64 v[36:37], s[24:25], v[10:11], v[12:13]
	v_fma_f64 v[10:11], v[10:11], s[24:25], -v[12:13]
	v_add_f64 v[12:13], v[132:133], -v[50:51]
	v_add_f64 v[30:31], v[36:37], v[30:31]
	v_add_f64 v[4:5], v[10:11], v[4:5]
	;; [unrolled: 1-line block ×3, first 2 shown]
	v_mul_f64 v[36:37], v[12:13], s[22:23]
	v_add_f64 v[28:29], v[38:39], v[28:29]
	v_fma_f64 v[38:39], s[24:25], v[10:11], v[36:37]
	v_fma_f64 v[36:37], v[10:11], s[24:25], -v[36:37]
	v_add_f64 v[14:15], v[36:37], v[14:15]
	v_mul_f64 v[36:37], v[12:13], s[30:31]
	v_add_f64 v[16:17], v[38:39], v[16:17]
	v_fma_f64 v[38:39], s[20:21], v[10:11], v[36:37]
	v_fma_f64 v[36:37], v[10:11], s[20:21], -v[36:37]
	v_add_f64 v[18:19], v[36:37], v[18:19]
	;; [unrolled: 5-line block ×3, first 2 shown]
	v_mul_f64 v[36:37], v[12:13], s[26:27]
	v_add_f64 v[24:25], v[38:39], v[24:25]
	v_fma_f64 v[38:39], s[28:29], v[10:11], v[36:37]
	v_fma_f64 v[36:37], v[10:11], s[28:29], -v[36:37]
	v_mul_f64 v[12:13], v[12:13], s[38:39]
	v_add_f64 v[26:27], v[36:37], v[26:27]
	v_fma_f64 v[36:37], s[18:19], v[10:11], v[12:13]
	v_fma_f64 v[10:11], v[10:11], s[18:19], -v[12:13]
	v_add_f64 v[28:29], v[38:39], v[28:29]
	v_add_f64 v[30:31], v[36:37], v[30:31]
	;; [unrolled: 1-line block ×4, first 2 shown]
	v_mul_f64 v[4:5], v[40:41], s[26:27]
	v_fma_f64 v[10:11], s[28:29], v[38:39], v[4:5]
	v_fma_f64 v[4:5], v[38:39], s[28:29], -v[4:5]
	v_mul_f64 v[12:13], v[40:41], s[36:37]
	v_add_f64 v[10:11], v[10:11], v[16:17]
	v_add_f64 v[4:5], v[4:5], v[14:15]
	v_fma_f64 v[14:15], s[12:13], v[38:39], v[12:13]
	v_fma_f64 v[12:13], v[38:39], s[12:13], -v[12:13]
	v_mul_f64 v[16:17], v[40:41], s[22:23]
	v_add_f64 v[12:13], v[12:13], v[18:19]
	v_fma_f64 v[18:19], s[24:25], v[38:39], v[16:17]
	v_fma_f64 v[16:17], v[38:39], s[24:25], -v[16:17]
	v_add_f64 v[16:17], v[16:17], v[22:23]
	v_mul_f64 v[22:23], v[40:41], s[38:39]
	v_add_f64 v[14:15], v[14:15], v[20:21]
	v_fma_f64 v[20:21], s[18:19], v[38:39], v[22:23]
	v_fma_f64 v[22:23], v[38:39], s[18:19], -v[22:23]
	v_add_f64 v[22:23], v[22:23], v[26:27]
	;; [unrolled: 5-line block ×3, first 2 shown]
	v_add_f64 v[36:37], v[160:161], -v[122:123]
	v_add_f64 v[24:25], v[24:25], v[30:31]
	v_add_f64 v[30:31], v[158:159], v[170:171]
	v_mul_f64 v[38:39], v[36:37], s[4:5]
	v_mul_f64 v[42:43], v[36:37], s[10:11]
	;; [unrolled: 1-line block ×5, first 2 shown]
	v_fma_f64 v[40:41], s[12:13], v[30:31], v[38:39]
	v_fma_f64 v[38:39], v[30:31], s[12:13], -v[38:39]
	v_fma_f64 v[206:207], s[18:19], v[30:31], v[42:43]
	v_fma_f64 v[42:43], v[30:31], s[18:19], -v[42:43]
	;; [unrolled: 2-line block ×5, first 2 shown]
	v_add_f64 v[20:21], v[20:21], v[28:29]
	v_add_f64 v[28:29], v[226:227], v[158:159]
	;; [unrolled: 1-line block ×12, first 2 shown]
	v_add_f64 v[226:227], v[138:139], -v[168:169]
	v_add_f64 v[36:37], v[156:157], v[166:167]
	v_mul_f64 v[236:237], v[226:227], s[10:11]
	v_fma_f64 v[238:239], s[18:19], v[36:37], v[236:237]
	v_fma_f64 v[236:237], v[36:37], s[18:19], -v[236:237]
	v_add_f64 v[38:39], v[236:237], v[38:39]
	v_mul_f64 v[236:237], v[226:227], s[22:23]
	v_add_f64 v[40:41], v[238:239], v[40:41]
	v_fma_f64 v[238:239], s[24:25], v[36:37], v[236:237]
	v_fma_f64 v[236:237], v[36:37], s[24:25], -v[236:237]
	v_add_f64 v[42:43], v[236:237], v[42:43]
	v_mul_f64 v[236:237], v[226:227], s[34:35]
	v_add_f64 v[206:207], v[238:239], v[206:207]
	v_fma_f64 v[238:239], s[28:29], v[36:37], v[236:237]
	v_fma_f64 v[236:237], v[36:37], s[28:29], -v[236:237]
	v_add_f64 v[214:215], v[236:237], v[214:215]
	v_mul_f64 v[236:237], v[226:227], s[30:31]
	v_add_f64 v[216:217], v[238:239], v[216:217]
	v_fma_f64 v[238:239], s[20:21], v[36:37], v[236:237]
	v_fma_f64 v[236:237], v[36:37], s[20:21], -v[236:237]
	v_mul_f64 v[226:227], v[226:227], s[36:37]
	v_add_f64 v[228:229], v[236:237], v[228:229]
	v_fma_f64 v[236:237], s[12:13], v[36:37], v[226:227]
	v_fma_f64 v[36:37], v[36:37], s[12:13], -v[226:227]
	v_add_f64 v[226:227], v[112:113], -v[126:127]
	v_add_f64 v[234:235], v[236:237], v[234:235]
	v_add_f64 v[30:31], v[36:37], v[30:31]
	v_add_f64 v[36:37], v[116:117], v[96:97]
	v_mul_f64 v[236:237], v[226:227], s[14:15]
	v_add_f64 v[232:233], v[238:239], v[232:233]
	v_fma_f64 v[238:239], s[20:21], v[36:37], v[236:237]
	v_fma_f64 v[236:237], v[36:37], s[20:21], -v[236:237]
	v_add_f64 v[38:39], v[236:237], v[38:39]
	v_mul_f64 v[236:237], v[226:227], s[34:35]
	v_add_f64 v[40:41], v[238:239], v[40:41]
	v_fma_f64 v[238:239], s[28:29], v[36:37], v[236:237]
	v_fma_f64 v[236:237], v[36:37], s[28:29], -v[236:237]
	v_add_f64 v[42:43], v[236:237], v[42:43]
	v_mul_f64 v[236:237], v[226:227], s[38:39]
	v_add_f64 v[206:207], v[238:239], v[206:207]
	v_fma_f64 v[238:239], s[18:19], v[36:37], v[236:237]
	v_fma_f64 v[236:237], v[36:37], s[18:19], -v[236:237]
	v_add_f64 v[214:215], v[236:237], v[214:215]
	v_mul_f64 v[236:237], v[226:227], s[4:5]
	v_add_f64 v[216:217], v[238:239], v[216:217]
	v_fma_f64 v[238:239], s[12:13], v[36:37], v[236:237]
	v_fma_f64 v[236:237], v[36:37], s[12:13], -v[236:237]
	v_mul_f64 v[226:227], v[226:227], s[22:23]
	v_add_f64 v[228:229], v[236:237], v[228:229]
	v_fma_f64 v[236:237], s[24:25], v[36:37], v[226:227]
	v_fma_f64 v[36:37], v[36:37], s[24:25], -v[226:227]
	v_add_f64 v[226:227], v[84:85], -v[52:53]
	v_add_f64 v[234:235], v[236:237], v[234:235]
	v_add_f64 v[30:31], v[36:37], v[30:31]
	v_add_f64 v[36:37], v[80:81], v[164:165]
	v_mul_f64 v[236:237], v[226:227], s[22:23]
	v_add_f64 v[232:233], v[238:239], v[232:233]
	;; [unrolled: 27-line block ×3, first 2 shown]
	v_fma_f64 v[238:239], s[28:29], v[36:37], v[236:237]
	v_fma_f64 v[236:237], v[36:37], s[28:29], -v[236:237]
	v_add_f64 v[38:39], v[236:237], v[38:39]
	v_mul_f64 v[236:237], v[226:227], s[36:37]
	v_add_f64 v[40:41], v[238:239], v[40:41]
	v_fma_f64 v[238:239], s[12:13], v[36:37], v[236:237]
	v_fma_f64 v[236:237], v[36:37], s[12:13], -v[236:237]
	v_add_f64 v[42:43], v[236:237], v[42:43]
	v_mul_f64 v[236:237], v[226:227], s[22:23]
	v_add_f64 v[206:207], v[238:239], v[206:207]
	v_fma_f64 v[238:239], s[24:25], v[36:37], v[236:237]
	v_add_f64 v[238:239], v[238:239], v[216:217]
	v_fma_f64 v[216:217], v[36:37], s[24:25], -v[236:237]
	v_add_f64 v[214:215], v[216:217], v[214:215]
	v_mul_f64 v[216:217], v[226:227], s[38:39]
	v_fma_f64 v[236:237], s[18:19], v[36:37], v[216:217]
	v_fma_f64 v[216:217], v[36:37], s[18:19], -v[216:217]
	v_add_f64 v[228:229], v[216:217], v[228:229]
	v_mul_f64 v[216:217], v[226:227], s[14:15]
	v_fma_f64 v[226:227], s[20:21], v[36:37], v[216:217]
	v_fma_f64 v[36:37], v[36:37], s[20:21], -v[216:217]
	v_add_f64 v[36:37], v[36:37], v[30:31]
	v_add_f64 v[30:31], v[224:225], v[162:163]
	v_add_f64 v[30:31], v[30:31], v[86:87]
	v_add_f64 v[30:31], v[30:31], v[72:73]
	v_add_f64 v[30:31], v[30:31], v[32:33]
	v_add_f64 v[30:31], v[30:31], v[82:83]
	v_add_f64 v[30:31], v[30:31], v[102:103]
	v_add_f64 v[30:31], v[30:31], v[92:93]
	v_add_f64 v[30:31], v[30:31], v[98:99]
	v_add_f64 v[30:31], v[30:31], v[188:189]
	v_add_f64 v[216:217], v[118:119], -v[192:193]
	v_add_f64 v[232:233], v[236:237], v[232:233]
	v_add_f64 v[226:227], v[226:227], v[234:235]
	;; [unrolled: 1-line block ×4, first 2 shown]
	v_mul_f64 v[236:237], v[216:217], s[4:5]
	v_mul_f64 v[242:243], v[216:217], s[10:11]
	;; [unrolled: 1-line block ×5, first 2 shown]
	v_fma_f64 v[240:241], s[12:13], v[30:31], v[236:237]
	v_fma_f64 v[236:237], v[30:31], s[12:13], -v[236:237]
	v_fma_f64 v[244:245], s[18:19], v[30:31], v[242:243]
	v_fma_f64 v[242:243], v[30:31], s[18:19], -v[242:243]
	;; [unrolled: 2-line block ×5, first 2 shown]
	v_add_f64 v[240:241], v[224:225], v[240:241]
	v_add_f64 v[236:237], v[224:225], v[236:237]
	;; [unrolled: 1-line block ×10, first 2 shown]
	v_add_f64 v[224:225], v[108:109], -v[34:35]
	v_add_f64 v[216:217], v[86:87], v[188:189]
	v_mul_f64 v[62:63], v[224:225], s[10:11]
	v_fma_f64 v[64:65], s[18:19], v[216:217], v[62:63]
	v_fma_f64 v[62:63], v[216:217], s[18:19], -v[62:63]
	v_add_f64 v[62:63], v[62:63], v[236:237]
	v_mul_f64 v[236:237], v[224:225], s[22:23]
	v_add_f64 v[64:65], v[64:65], v[240:241]
	v_fma_f64 v[240:241], s[24:25], v[216:217], v[236:237]
	v_fma_f64 v[236:237], v[216:217], s[24:25], -v[236:237]
	v_add_f64 v[236:237], v[236:237], v[242:243]
	v_mul_f64 v[242:243], v[224:225], s[34:35]
	v_add_f64 v[240:241], v[240:241], v[244:245]
	v_fma_f64 v[244:245], s[28:29], v[216:217], v[242:243]
	v_fma_f64 v[242:243], v[216:217], s[28:29], -v[242:243]
	v_add_f64 v[242:243], v[242:243], v[246:247]
	v_mul_f64 v[246:247], v[224:225], s[30:31]
	v_add_f64 v[244:245], v[244:245], v[248:249]
	v_fma_f64 v[248:249], s[20:21], v[216:217], v[246:247]
	v_fma_f64 v[246:247], v[216:217], s[20:21], -v[246:247]
	v_mul_f64 v[224:225], v[224:225], s[36:37]
	v_add_f64 v[246:247], v[246:247], v[250:251]
	v_fma_f64 v[250:251], s[12:13], v[216:217], v[224:225]
	v_fma_f64 v[216:217], v[216:217], s[12:13], -v[224:225]
	v_add_f64 v[224:225], v[76:77], -v[44:45]
	v_add_f64 v[248:249], v[248:249], v[252:253]
	v_add_f64 v[30:31], v[216:217], v[30:31]
	v_add_f64 v[216:217], v[72:73], v[98:99]
	v_mul_f64 v[252:253], v[224:225], s[14:15]
	v_add_f64 v[250:251], v[250:251], v[254:255]
	v_fma_f64 v[254:255], s[20:21], v[216:217], v[252:253]
	v_fma_f64 v[252:253], v[216:217], s[20:21], -v[252:253]
	v_add_f64 v[62:63], v[252:253], v[62:63]
	v_mul_f64 v[252:253], v[224:225], s[34:35]
	v_add_f64 v[64:65], v[254:255], v[64:65]
	v_fma_f64 v[254:255], s[28:29], v[216:217], v[252:253]
	v_fma_f64 v[252:253], v[216:217], s[28:29], -v[252:253]
	v_add_f64 v[236:237], v[252:253], v[236:237]
	v_mul_f64 v[252:253], v[224:225], s[38:39]
	v_add_f64 v[240:241], v[254:255], v[240:241]
	v_fma_f64 v[254:255], s[18:19], v[216:217], v[252:253]
	v_fma_f64 v[252:253], v[216:217], s[18:19], -v[252:253]
	v_add_f64 v[242:243], v[252:253], v[242:243]
	v_mul_f64 v[252:253], v[224:225], s[4:5]
	v_add_f64 v[244:245], v[254:255], v[244:245]
	v_fma_f64 v[254:255], s[12:13], v[216:217], v[252:253]
	v_fma_f64 v[252:253], v[216:217], s[12:13], -v[252:253]
	v_mul_f64 v[224:225], v[224:225], s[22:23]
	v_add_f64 v[246:247], v[252:253], v[246:247]
	v_fma_f64 v[252:253], s[24:25], v[216:217], v[224:225]
	v_fma_f64 v[216:217], v[216:217], s[24:25], -v[224:225]
	v_add_f64 v[224:225], v[68:69], -v[54:55]
	v_add_f64 v[250:251], v[252:253], v[250:251]
	v_add_f64 v[30:31], v[216:217], v[30:31]
	v_add_f64 v[216:217], v[32:33], v[92:93]
	v_mul_f64 v[252:253], v[224:225], s[22:23]
	v_add_f64 v[248:249], v[254:255], v[248:249]
	;; [unrolled: 27-line block ×3, first 2 shown]
	v_fma_f64 v[254:255], s[28:29], v[216:217], v[252:253]
	v_fma_f64 v[252:253], v[216:217], s[28:29], -v[252:253]
	v_add_f64 v[62:63], v[252:253], v[62:63]
	v_mul_f64 v[252:253], v[224:225], s[36:37]
	v_add_f64 v[8:9], v[8:9], v[148:149]
	v_add_f64 v[64:65], v[254:255], v[64:65]
	v_fma_f64 v[254:255], s[12:13], v[216:217], v[252:253]
	v_fma_f64 v[252:253], v[216:217], s[12:13], -v[252:253]
	v_add_f64 v[8:9], v[8:9], v[136:137]
	v_add_f64 v[236:237], v[252:253], v[236:237]
	v_mul_f64 v[252:253], v[224:225], s[22:23]
	v_add_f64 v[8:9], v[8:9], v[110:111]
	v_add_f64 v[240:241], v[254:255], v[240:241]
	v_fma_f64 v[254:255], s[24:25], v[216:217], v[252:253]
	v_fma_f64 v[252:253], v[216:217], s[24:25], -v[252:253]
	v_add_f64 v[8:9], v[8:9], v[2:3]
	v_add_f64 v[28:29], v[28:29], v[156:157]
	;; [unrolled: 1-line block ×3, first 2 shown]
	v_mul_f64 v[252:253], v[224:225], s[38:39]
	v_add_f64 v[8:9], v[8:9], v[70:71]
	v_add_f64 v[28:29], v[28:29], v[116:117]
	;; [unrolled: 1-line block ×3, first 2 shown]
	v_fma_f64 v[254:255], s[18:19], v[216:217], v[252:253]
	v_fma_f64 v[252:253], v[216:217], s[18:19], -v[252:253]
	v_mul_f64 v[224:225], v[224:225], s[14:15]
	v_add_f64 v[8:9], v[8:9], v[106:107]
	v_add_f64 v[28:29], v[28:29], v[80:81]
	;; [unrolled: 1-line block ×3, first 2 shown]
	v_fma_f64 v[252:253], s[20:21], v[216:217], v[224:225]
	v_fma_f64 v[216:217], v[216:217], s[20:21], -v[224:225]
	v_add_f64 v[8:9], v[8:9], v[94:95]
	v_add_f64 v[28:29], v[28:29], v[134:135]
	;; [unrolled: 1-line block ×4, first 2 shown]
	v_mov_b32_e32 v30, 3
	v_add_f64 v[8:9], v[8:9], v[128:129]
	v_add_f64 v[28:29], v[28:29], v[100:101]
	v_mul_u32_u24_e32 v31, 0x268, v202
	v_lshlrev_b32_sdwa v202, v30, v203 dst_sel:DWORD dst_unused:UNUSED_PAD src0_sel:DWORD src1_sel:BYTE_0
	v_add_f64 v[8:9], v[8:9], v[90:91]
	v_add_f64 v[28:29], v[28:29], v[164:165]
	v_add3_u32 v217, 0, v31, v202
	v_add_f64 v[28:29], v[28:29], v[96:97]
	ds_write2_b64 v217, v[8:9], v[10:11] offset1:7
	ds_write2_b64 v217, v[14:15], v[18:19] offset0:14 offset1:21
	ds_write2_b64 v217, v[20:21], v[24:25] offset0:28 offset1:35
	;; [unrolled: 1-line block ×4, first 2 shown]
	ds_write_b64 v217, v[4:5] offset:560
	v_mul_u32_u24_e32 v4, 0x268, v209
	v_lshlrev_b32_sdwa v5, v30, v210 dst_sel:DWORD dst_unused:UNUSED_PAD src0_sel:DWORD src1_sel:BYTE_0
	v_add_f64 v[28:29], v[28:29], v[166:167]
	v_add3_u32 v224, 0, v4, v5
	v_mul_u32_u24_e32 v4, 0x268, v211
	v_lshlrev_b32_sdwa v5, v30, v212 dst_sel:DWORD dst_unused:UNUSED_PAD src0_sel:DWORD src1_sel:BYTE_0
	v_add_f64 v[28:29], v[28:29], v[170:171]
	v_add3_u32 v225, 0, v4, v5
	v_add_f64 v[248:249], v[254:255], v[248:249]
	ds_write2_b64 v224, v[28:29], v[40:41] offset1:7
	ds_write2_b64 v224, v[206:207], v[238:239] offset0:14 offset1:21
	ds_write2_b64 v224, v[232:233], v[226:227] offset0:28 offset1:35
	;; [unrolled: 1-line block ×4, first 2 shown]
	ds_write_b64 v224, v[38:39] offset:560
	ds_write2_b64 v225, v[234:235], v[64:65] offset1:7
	ds_write2_b64 v225, v[240:241], v[244:245] offset0:14 offset1:21
	ds_write2_b64 v225, v[248:249], v[250:251] offset0:28 offset1:35
	;; [unrolled: 1-line block ×4, first 2 shown]
	ds_write_b64 v225, v[62:63] offset:560
	s_and_saveexec_b64 s[40:41], s[0:1]
	s_cbranch_execz .LBB0_19
; %bb.18:
	v_accvgpr_read_b32 v25, a9
	v_add_f64 v[64:65], v[182:183], -v[200:201]
	v_accvgpr_read_b32 v17, a7
	v_accvgpr_read_b32 v24, a8
	v_add_f64 v[38:39], v[104:105], -v[196:197]
	v_add_f64 v[62:63], v[178:179], v[198:199]
	v_mul_f64 v[202:203], v[64:65], s[26:27]
	v_accvgpr_read_b32 v16, a6
	v_add_f64 v[24:25], v[24:25], -v[186:187]
	v_add_f64 v[36:37], v[88:89], v[194:195]
	v_mul_f64 v[40:41], v[38:39], s[36:37]
	v_fma_f64 v[206:207], v[62:63], s[28:29], -v[202:203]
	v_add_f64 v[16:17], v[16:17], -v[180:181]
	v_add_f64 v[22:23], v[78:79], v[184:185]
	v_mul_f64 v[26:27], v[24:25], s[22:23]
	v_fma_f64 v[42:43], v[36:37], s[12:13], -v[40:41]
	v_add_f64 v[206:207], v[222:223], v[206:207]
	v_add_f64 v[8:9], v[114:115], -v[174:175]
	v_add_f64 v[14:15], v[60:61], v[176:177]
	v_mul_f64 v[18:19], v[16:17], s[38:39]
	v_fma_f64 v[28:29], v[22:23], s[24:25], -v[26:27]
	v_add_f64 v[42:43], v[42:43], v[206:207]
	v_add_f64 v[4:5], v[66:67], v[172:173]
	v_mul_f64 v[10:11], v[8:9], s[14:15]
	v_fma_f64 v[20:21], v[14:15], s[18:19], -v[18:19]
	v_add_f64 v[28:29], v[28:29], v[42:43]
	v_fma_f64 v[12:13], v[4:5], s[20:21], -v[10:11]
	v_add_f64 v[20:21], v[20:21], v[28:29]
	v_fmac_f64_e32 v[202:203], s[28:29], v[62:63]
	v_add_f64 v[12:13], v[12:13], v[20:21]
	v_fmac_f64_e32 v[40:41], s[12:13], v[36:37]
	v_add_f64 v[20:21], v[222:223], v[202:203]
	v_mul_f64 v[210:211], v[64:65], s[22:23]
	v_fmac_f64_e32 v[26:27], s[24:25], v[22:23]
	v_add_f64 v[20:21], v[40:41], v[20:21]
	v_mul_f64 v[202:203], v[38:39], s[30:31]
	v_fma_f64 v[212:213], v[62:63], s[24:25], -v[210:211]
	v_fmac_f64_e32 v[18:19], s[18:19], v[14:15]
	v_add_f64 v[20:21], v[26:27], v[20:21]
	v_mul_f64 v[40:41], v[24:25], s[4:5]
	v_fma_f64 v[206:207], v[36:37], s[20:21], -v[202:203]
	v_add_f64 v[212:213], v[222:223], v[212:213]
	v_fmac_f64_e32 v[10:11], s[20:21], v[4:5]
	v_add_f64 v[18:19], v[18:19], v[20:21]
	v_mul_f64 v[26:27], v[16:17], s[26:27]
	v_fma_f64 v[42:43], v[22:23], s[12:13], -v[40:41]
	v_add_f64 v[206:207], v[206:207], v[212:213]
	v_add_f64 v[10:11], v[10:11], v[18:19]
	v_mul_f64 v[18:19], v[8:9], s[38:39]
	v_fma_f64 v[28:29], v[14:15], s[28:29], -v[26:27]
	v_add_f64 v[42:43], v[42:43], v[206:207]
	v_fma_f64 v[20:21], v[4:5], s[18:19], -v[18:19]
	v_add_f64 v[28:29], v[28:29], v[42:43]
	v_fmac_f64_e32 v[210:211], s[24:25], v[62:63]
	v_add_f64 v[20:21], v[20:21], v[28:29]
	v_fmac_f64_e32 v[202:203], s[20:21], v[36:37]
	v_add_f64 v[28:29], v[222:223], v[210:211]
	v_mul_f64 v[214:215], v[64:65], s[14:15]
	v_fmac_f64_e32 v[40:41], s[12:13], v[22:23]
	v_add_f64 v[28:29], v[202:203], v[28:29]
	v_mul_f64 v[210:211], v[38:39], s[34:35]
	v_fma_f64 v[226:227], v[62:63], s[20:21], -v[214:215]
	v_fmac_f64_e32 v[26:27], s[28:29], v[14:15]
	v_add_f64 v[28:29], v[40:41], v[28:29]
	v_mul_f64 v[202:203], v[24:25], s[38:39]
	v_fma_f64 v[212:213], v[36:37], s[28:29], -v[210:211]
	v_add_f64 v[226:227], v[222:223], v[226:227]
	v_fmac_f64_e32 v[18:19], s[18:19], v[4:5]
	;; [unrolled: 25-line block ×3, first 2 shown]
	v_add_f64 v[40:41], v[40:41], v[42:43]
	v_mul_f64 v[202:203], v[16:17], s[30:31]
	v_fma_f64 v[212:213], v[22:23], s[28:29], -v[210:211]
	v_add_f64 v[226:227], v[226:227], v[232:233]
	v_add_f64 v[26:27], v[26:27], v[40:41]
	v_mul_f64 v[40:41], v[8:9], s[36:37]
	v_fma_f64 v[206:207], v[14:15], s[20:21], -v[202:203]
	v_add_f64 v[212:213], v[212:213], v[226:227]
	v_fma_f64 v[42:43], v[4:5], s[12:13], -v[40:41]
	v_add_f64 v[206:207], v[206:207], v[212:213]
	v_fmac_f64_e32 v[228:229], s[18:19], v[62:63]
	v_add_f64 v[42:43], v[42:43], v[206:207]
	v_fmac_f64_e32 v[214:215], s[24:25], v[36:37]
	;; [unrolled: 2-line block ×4, first 2 shown]
	v_add_f64 v[206:207], v[210:211], v[206:207]
	v_mul_f64 v[64:65], v[64:65], s[4:5]
	v_fmac_f64_e32 v[40:41], s[12:13], v[4:5]
	v_add_f64 v[202:203], v[202:203], v[206:207]
	v_mul_f64 v[8:9], v[8:9], s[26:27]
	v_mul_f64 v[38:39], v[38:39], s[10:11]
	v_fma_f64 v[214:215], v[62:63], s[12:13], -v[64:65]
	v_fmac_f64_e32 v[64:65], s[12:13], v[62:63]
	v_add_f64 v[40:41], v[40:41], v[202:203]
	v_fma_f64 v[202:203], v[4:5], s[28:29], -v[8:9]
	v_mul_f64 v[24:25], v[24:25], s[14:15]
	v_fma_f64 v[212:213], v[36:37], s[18:19], -v[38:39]
	v_fmac_f64_e32 v[8:9], s[28:29], v[4:5]
	v_fmac_f64_e32 v[38:39], s[18:19], v[36:37]
	v_add_f64 v[4:5], v[222:223], v[64:65]
	v_mul_f64 v[16:17], v[16:17], s[22:23]
	v_fma_f64 v[210:211], v[22:23], s[20:21], -v[24:25]
	v_fmac_f64_e32 v[24:25], s[20:21], v[22:23]
	v_add_f64 v[4:5], v[38:39], v[4:5]
	v_fma_f64 v[206:207], v[14:15], s[24:25], -v[16:17]
	v_fmac_f64_e32 v[16:17], s[24:25], v[14:15]
	v_add_f64 v[4:5], v[24:25], v[4:5]
	v_add_f64 v[4:5], v[16:17], v[4:5]
	;; [unrolled: 1-line block ×15, first 2 shown]
	v_mul_u32_u24_e32 v14, 0x268, v204
	v_lshlrev_b32_sdwa v15, v30, v208 dst_sel:DWORD dst_unused:UNUSED_PAD src0_sel:DWORD src1_sel:BYTE_0
	v_add_f64 v[206:207], v[206:207], v[210:211]
	v_add_f64 v[8:9], v[8:9], v[198:199]
	v_add3_u32 v14, 0, v14, v15
	v_add_f64 v[202:203], v[202:203], v[206:207]
	ds_write2_b64 v14, v[8:9], v[4:5] offset1:7
	ds_write2_b64 v14, v[40:41], v[26:27] offset0:14 offset1:21
	ds_write2_b64 v14, v[18:19], v[10:11] offset0:28 offset1:35
	;; [unrolled: 1-line block ×4, first 2 shown]
	ds_write_b64 v14, v[202:203] offset:560
.LBB0_19:
	s_or_b64 exec, exec, s[40:41]
	v_add_f64 v[4:5], v[0:1], v[154:155]
	v_add_f64 v[4:5], v[4:5], v[150:151]
	;; [unrolled: 1-line block ×11, first 2 shown]
	v_add_f64 v[8:9], v[152:153], -v[90:91]
	v_mul_f64 v[10:11], v[4:5], s[12:13]
	v_mul_f64 v[14:15], v[4:5], s[18:19]
	;; [unrolled: 1-line block ×4, first 2 shown]
	s_mov_b32 s41, 0x3fe82f19
	s_mov_b32 s40, s22
	v_mul_f64 v[4:5], v[4:5], s[28:29]
	v_fma_f64 v[12:13], s[36:37], v[8:9], v[10:11]
	v_fmac_f64_e32 v[10:11], s[4:5], v[8:9]
	v_fma_f64 v[16:17], s[38:39], v[8:9], v[14:15]
	v_fmac_f64_e32 v[14:15], s[10:11], v[8:9]
	;; [unrolled: 2-line block ×5, first 2 shown]
	v_add_f64 v[12:13], v[0:1], v[12:13]
	v_add_f64 v[10:11], v[0:1], v[10:11]
	;; [unrolled: 1-line block ×11, first 2 shown]
	v_add_f64 v[8:9], v[148:149], -v[128:129]
	v_mul_f64 v[28:29], v[4:5], s[18:19]
	v_fma_f64 v[30:31], s[38:39], v[8:9], v[28:29]
	v_fmac_f64_e32 v[28:29], s[10:11], v[8:9]
	v_add_f64 v[10:11], v[28:29], v[10:11]
	v_mul_f64 v[28:29], v[4:5], s[24:25]
	v_add_f64 v[12:13], v[30:31], v[12:13]
	v_fma_f64 v[30:31], s[40:41], v[8:9], v[28:29]
	v_fmac_f64_e32 v[28:29], s[22:23], v[8:9]
	v_add_f64 v[14:15], v[28:29], v[14:15]
	v_mul_f64 v[28:29], v[4:5], s[28:29]
	v_add_f64 v[16:17], v[30:31], v[16:17]
	;; [unrolled: 5-line block ×3, first 2 shown]
	v_fma_f64 v[30:31], s[14:15], v[8:9], v[28:29]
	v_fmac_f64_e32 v[28:29], s[30:31], v[8:9]
	v_mul_f64 v[4:5], v[4:5], s[12:13]
	v_add_f64 v[22:23], v[28:29], v[22:23]
	v_fma_f64 v[28:29], s[4:5], v[8:9], v[4:5]
	v_fmac_f64_e32 v[4:5], s[36:37], v[8:9]
	v_add_f64 v[0:1], v[4:5], v[0:1]
	v_add_f64 v[4:5], v[146:147], v[124:125]
	;; [unrolled: 1-line block ×3, first 2 shown]
	v_add_f64 v[8:9], v[136:137], -v[94:95]
	v_mul_f64 v[28:29], v[4:5], s[20:21]
	v_add_f64 v[24:25], v[30:31], v[24:25]
	v_fma_f64 v[30:31], s[30:31], v[8:9], v[28:29]
	v_fmac_f64_e32 v[28:29], s[14:15], v[8:9]
	v_add_f64 v[10:11], v[28:29], v[10:11]
	v_mul_f64 v[28:29], v[4:5], s[28:29]
	v_add_f64 v[12:13], v[30:31], v[12:13]
	v_fma_f64 v[30:31], s[26:27], v[8:9], v[28:29]
	v_fmac_f64_e32 v[28:29], s[34:35], v[8:9]
	v_add_f64 v[14:15], v[28:29], v[14:15]
	;; [unrolled: 5-line block ×3, first 2 shown]
	v_mul_f64 v[28:29], v[4:5], s[12:13]
	v_add_f64 v[20:21], v[30:31], v[20:21]
	v_fma_f64 v[30:31], s[36:37], v[8:9], v[28:29]
	v_fmac_f64_e32 v[28:29], s[4:5], v[8:9]
	v_mul_f64 v[4:5], v[4:5], s[24:25]
	v_add_f64 v[22:23], v[28:29], v[22:23]
	v_fma_f64 v[28:29], s[40:41], v[8:9], v[4:5]
	v_fmac_f64_e32 v[4:5], s[22:23], v[8:9]
	v_add_f64 v[0:1], v[4:5], v[0:1]
	v_add_f64 v[4:5], v[132:133], v[50:51]
	v_add_f64 v[26:27], v[28:29], v[26:27]
	v_add_f64 v[8:9], v[110:111], -v[106:107]
	v_mul_f64 v[28:29], v[4:5], s[24:25]
	v_add_f64 v[24:25], v[30:31], v[24:25]
	v_fma_f64 v[30:31], s[40:41], v[8:9], v[28:29]
	v_fmac_f64_e32 v[28:29], s[22:23], v[8:9]
	v_add_f64 v[10:11], v[28:29], v[10:11]
	v_mul_f64 v[28:29], v[4:5], s[20:21]
	v_add_f64 v[12:13], v[30:31], v[12:13]
	v_fma_f64 v[30:31], s[14:15], v[8:9], v[28:29]
	v_fmac_f64_e32 v[28:29], s[30:31], v[8:9]
	v_add_f64 v[14:15], v[28:29], v[14:15]
	;; [unrolled: 5-line block ×3, first 2 shown]
	v_mul_f64 v[28:29], v[4:5], s[28:29]
	v_add_f64 v[20:21], v[30:31], v[20:21]
	v_fma_f64 v[30:31], s[34:35], v[8:9], v[28:29]
	v_fmac_f64_e32 v[28:29], s[26:27], v[8:9]
	v_mul_f64 v[4:5], v[4:5], s[18:19]
	v_add_f64 v[22:23], v[28:29], v[22:23]
	v_fma_f64 v[28:29], s[10:11], v[8:9], v[4:5]
	v_fmac_f64_e32 v[4:5], s[38:39], v[8:9]
	v_add_f64 v[0:1], v[4:5], v[0:1]
	v_add_f64 v[4:5], v[6:7], v[74:75]
	v_add_f64 v[2:3], v[2:3], -v[70:71]
	v_mul_f64 v[6:7], v[4:5], s[28:29]
	v_fma_f64 v[8:9], s[34:35], v[2:3], v[6:7]
	v_fmac_f64_e32 v[6:7], s[26:27], v[2:3]
	v_add_f64 v[70:71], v[6:7], v[10:11]
	v_mul_f64 v[6:7], v[4:5], s[12:13]
	v_add_f64 v[74:75], v[8:9], v[12:13]
	v_fma_f64 v[8:9], s[4:5], v[2:3], v[6:7]
	v_fmac_f64_e32 v[6:7], s[36:37], v[2:3]
	v_add_f64 v[94:95], v[6:7], v[14:15]
	v_mul_f64 v[6:7], v[4:5], s[24:25]
	v_add_f64 v[90:91], v[8:9], v[16:17]
	;; [unrolled: 5-line block ×3, first 2 shown]
	v_fma_f64 v[8:9], s[10:11], v[2:3], v[6:7]
	v_fmac_f64_e32 v[6:7], s[38:39], v[2:3]
	v_mul_f64 v[4:5], v[4:5], s[20:21]
	v_add_f64 v[136:137], v[6:7], v[22:23]
	v_fma_f64 v[6:7], s[30:31], v[2:3], v[4:5]
	v_fmac_f64_e32 v[4:5], s[14:15], v[2:3]
	v_add_f64 v[148:149], v[4:5], v[0:1]
	v_add_f64 v[0:1], v[144:145], v[160:161]
	;; [unrolled: 1-line block ×15, first 2 shown]
	v_add_f64 v[2:3], v[158:159], -v[170:171]
	v_mul_f64 v[4:5], v[0:1], s[12:13]
	v_mul_f64 v[8:9], v[0:1], s[18:19]
	;; [unrolled: 1-line block ×5, first 2 shown]
	v_add_f64 v[146:147], v[6:7], v[26:27]
	v_fma_f64 v[6:7], s[36:37], v[2:3], v[4:5]
	v_fmac_f64_e32 v[4:5], s[4:5], v[2:3]
	v_fma_f64 v[10:11], s[38:39], v[2:3], v[8:9]
	v_fmac_f64_e32 v[8:9], s[10:11], v[2:3]
	;; [unrolled: 2-line block ×5, first 2 shown]
	v_add_f64 v[2:3], v[138:139], v[168:169]
	v_add_f64 v[22:23], v[156:157], -v[166:167]
	v_mul_f64 v[24:25], v[2:3], s[18:19]
	v_add_f64 v[4:5], v[144:145], v[4:5]
	v_fma_f64 v[26:27], s[38:39], v[22:23], v[24:25]
	v_fmac_f64_e32 v[24:25], s[10:11], v[22:23]
	v_add_f64 v[6:7], v[144:145], v[6:7]
	v_add_f64 v[4:5], v[24:25], v[4:5]
	v_mul_f64 v[24:25], v[2:3], s[24:25]
	v_add_f64 v[8:9], v[144:145], v[8:9]
	v_add_f64 v[6:7], v[26:27], v[6:7]
	v_fma_f64 v[26:27], s[40:41], v[22:23], v[24:25]
	v_fmac_f64_e32 v[24:25], s[22:23], v[22:23]
	v_add_f64 v[10:11], v[144:145], v[10:11]
	v_add_f64 v[8:9], v[24:25], v[8:9]
	v_mul_f64 v[24:25], v[2:3], s[28:29]
	v_add_f64 v[12:13], v[144:145], v[12:13]
	v_add_f64 v[10:11], v[26:27], v[10:11]
	v_fma_f64 v[26:27], s[26:27], v[22:23], v[24:25]
	v_fmac_f64_e32 v[24:25], s[34:35], v[22:23]
	v_add_f64 v[14:15], v[144:145], v[14:15]
	v_add_f64 v[12:13], v[24:25], v[12:13]
	v_mul_f64 v[24:25], v[2:3], s[20:21]
	v_add_f64 v[16:17], v[144:145], v[16:17]
	v_add_f64 v[14:15], v[26:27], v[14:15]
	v_fma_f64 v[26:27], s[14:15], v[22:23], v[24:25]
	v_fmac_f64_e32 v[24:25], s[30:31], v[22:23]
	v_mul_f64 v[2:3], v[2:3], s[12:13]
	v_add_f64 v[0:1], v[144:145], v[0:1]
	v_add_f64 v[16:17], v[24:25], v[16:17]
	v_fma_f64 v[24:25], s[4:5], v[22:23], v[2:3]
	v_fmac_f64_e32 v[2:3], s[36:37], v[22:23]
	v_add_f64 v[20:21], v[144:145], v[20:21]
	v_add_f64 v[0:1], v[2:3], v[0:1]
	;; [unrolled: 1-line block ×5, first 2 shown]
	v_add_f64 v[22:23], v[116:117], -v[96:97]
	v_mul_f64 v[24:25], v[2:3], s[20:21]
	v_add_f64 v[18:19], v[26:27], v[18:19]
	v_fma_f64 v[26:27], s[30:31], v[22:23], v[24:25]
	v_fmac_f64_e32 v[24:25], s[14:15], v[22:23]
	v_add_f64 v[4:5], v[24:25], v[4:5]
	v_mul_f64 v[24:25], v[2:3], s[28:29]
	v_add_f64 v[6:7], v[26:27], v[6:7]
	v_fma_f64 v[26:27], s[26:27], v[22:23], v[24:25]
	v_fmac_f64_e32 v[24:25], s[34:35], v[22:23]
	v_add_f64 v[8:9], v[24:25], v[8:9]
	v_mul_f64 v[24:25], v[2:3], s[18:19]
	v_add_f64 v[10:11], v[26:27], v[10:11]
	v_fma_f64 v[26:27], s[10:11], v[22:23], v[24:25]
	v_fmac_f64_e32 v[24:25], s[38:39], v[22:23]
	v_add_f64 v[12:13], v[24:25], v[12:13]
	v_mul_f64 v[24:25], v[2:3], s[12:13]
	v_add_f64 v[14:15], v[26:27], v[14:15]
	v_fma_f64 v[26:27], s[36:37], v[22:23], v[24:25]
	v_fmac_f64_e32 v[24:25], s[4:5], v[22:23]
	v_mul_f64 v[2:3], v[2:3], s[24:25]
	v_add_f64 v[16:17], v[24:25], v[16:17]
	v_fma_f64 v[24:25], s[40:41], v[22:23], v[2:3]
	v_fmac_f64_e32 v[2:3], s[22:23], v[22:23]
	v_add_f64 v[0:1], v[2:3], v[0:1]
	v_add_f64 v[2:3], v[84:85], v[52:53]
	v_add_f64 v[20:21], v[24:25], v[20:21]
	v_add_f64 v[22:23], v[80:81], -v[164:165]
	v_mul_f64 v[24:25], v[2:3], s[24:25]
	v_add_f64 v[18:19], v[26:27], v[18:19]
	v_fma_f64 v[26:27], s[40:41], v[22:23], v[24:25]
	v_fmac_f64_e32 v[24:25], s[22:23], v[22:23]
	v_add_f64 v[4:5], v[24:25], v[4:5]
	v_mul_f64 v[24:25], v[2:3], s[20:21]
	v_add_f64 v[6:7], v[26:27], v[6:7]
	v_fma_f64 v[26:27], s[14:15], v[22:23], v[24:25]
	v_fmac_f64_e32 v[24:25], s[30:31], v[22:23]
	v_add_f64 v[8:9], v[24:25], v[8:9]
	v_mul_f64 v[24:25], v[2:3], s[12:13]
	v_add_f64 v[10:11], v[26:27], v[10:11]
	v_fma_f64 v[26:27], s[36:37], v[22:23], v[24:25]
	v_fmac_f64_e32 v[24:25], s[4:5], v[22:23]
	v_add_f64 v[12:13], v[24:25], v[12:13]
	v_mul_f64 v[24:25], v[2:3], s[28:29]
	v_add_f64 v[14:15], v[26:27], v[14:15]
	v_fma_f64 v[26:27], s[34:35], v[22:23], v[24:25]
	v_fmac_f64_e32 v[24:25], s[26:27], v[22:23]
	v_mul_f64 v[2:3], v[2:3], s[18:19]
	v_add_f64 v[16:17], v[24:25], v[16:17]
	v_fma_f64 v[24:25], s[10:11], v[22:23], v[2:3]
	v_fmac_f64_e32 v[2:3], s[38:39], v[22:23]
	v_add_f64 v[0:1], v[2:3], v[0:1]
	v_add_f64 v[2:3], v[56:57], v[130:131]
	v_add_f64 v[20:21], v[24:25], v[20:21]
	v_add_f64 v[22:23], v[134:135], -v[100:101]
	v_mul_f64 v[24:25], v[2:3], s[28:29]
	v_add_f64 v[18:19], v[26:27], v[18:19]
	v_fma_f64 v[26:27], s[34:35], v[22:23], v[24:25]
	v_fmac_f64_e32 v[24:25], s[26:27], v[22:23]
	v_add_f64 v[4:5], v[24:25], v[4:5]
	v_mul_f64 v[24:25], v[2:3], s[12:13]
	v_add_f64 v[6:7], v[26:27], v[6:7]
	v_fma_f64 v[26:27], s[4:5], v[22:23], v[24:25]
	v_fmac_f64_e32 v[24:25], s[36:37], v[22:23]
	v_add_f64 v[64:65], v[24:25], v[8:9]
	v_mul_f64 v[8:9], v[2:3], s[24:25]
	v_add_f64 v[62:63], v[26:27], v[10:11]
	v_fma_f64 v[10:11], s[40:41], v[22:23], v[8:9]
	v_fmac_f64_e32 v[8:9], s[22:23], v[22:23]
	v_add_f64 v[84:85], v[8:9], v[12:13]
	v_mul_f64 v[8:9], v[2:3], s[18:19]
	v_add_f64 v[80:81], v[10:11], v[14:15]
	v_fma_f64 v[10:11], s[10:11], v[22:23], v[8:9]
	v_fmac_f64_e32 v[8:9], s[38:39], v[22:23]
	v_mul_f64 v[2:3], v[2:3], s[20:21]
	v_add_f64 v[100:101], v[8:9], v[16:17]
	v_fma_f64 v[8:9], s[30:31], v[22:23], v[2:3]
	v_fmac_f64_e32 v[2:3], s[14:15], v[22:23]
	v_add_f64 v[116:117], v[2:3], v[0:1]
	v_add_f64 v[0:1], v[142:143], v[118:119]
	v_add_f64 v[0:1], v[0:1], v[108:109]
	v_add_f64 v[0:1], v[0:1], v[76:77]
	v_add_f64 v[0:1], v[0:1], v[68:69]
	;; [unrolled: 1-line block ×10, first 2 shown]
	v_add_f64 v[2:3], v[162:163], -v[190:191]
	v_mul_f64 v[8:9], v[0:1], s[12:13]
	v_mul_f64 v[12:13], v[0:1], s[18:19]
	v_mul_f64 v[16:17], v[0:1], s[20:21]
	v_mul_f64 v[20:21], v[0:1], s[24:25]
	v_mul_f64 v[0:1], v[0:1], s[28:29]
	v_add_f64 v[96:97], v[10:11], v[18:19]
	v_fma_f64 v[10:11], s[36:37], v[2:3], v[8:9]
	v_fmac_f64_e32 v[8:9], s[4:5], v[2:3]
	v_fma_f64 v[14:15], s[38:39], v[2:3], v[12:13]
	v_fmac_f64_e32 v[12:13], s[10:11], v[2:3]
	;; [unrolled: 2-line block ×5, first 2 shown]
	v_add_f64 v[2:3], v[108:109], v[34:35]
	v_add_f64 v[26:27], v[86:87], -v[188:189]
	v_mul_f64 v[28:29], v[2:3], s[18:19]
	v_add_f64 v[8:9], v[142:143], v[8:9]
	v_fma_f64 v[30:31], s[38:39], v[26:27], v[28:29]
	v_fmac_f64_e32 v[28:29], s[10:11], v[26:27]
	v_add_f64 v[10:11], v[142:143], v[10:11]
	v_add_f64 v[8:9], v[28:29], v[8:9]
	v_mul_f64 v[28:29], v[2:3], s[24:25]
	v_add_f64 v[12:13], v[142:143], v[12:13]
	v_add_f64 v[10:11], v[30:31], v[10:11]
	v_fma_f64 v[30:31], s[40:41], v[26:27], v[28:29]
	v_fmac_f64_e32 v[28:29], s[22:23], v[26:27]
	v_add_f64 v[14:15], v[142:143], v[14:15]
	v_add_f64 v[12:13], v[28:29], v[12:13]
	v_mul_f64 v[28:29], v[2:3], s[28:29]
	v_add_f64 v[16:17], v[142:143], v[16:17]
	;; [unrolled: 7-line block ×3, first 2 shown]
	v_add_f64 v[18:19], v[30:31], v[18:19]
	v_fma_f64 v[30:31], s[14:15], v[26:27], v[28:29]
	v_fmac_f64_e32 v[28:29], s[30:31], v[26:27]
	v_mul_f64 v[2:3], v[2:3], s[12:13]
	v_add_f64 v[0:1], v[142:143], v[0:1]
	v_add_f64 v[20:21], v[28:29], v[20:21]
	v_fma_f64 v[28:29], s[4:5], v[26:27], v[2:3]
	v_fmac_f64_e32 v[2:3], s[36:37], v[26:27]
	v_add_f64 v[24:25], v[142:143], v[24:25]
	v_add_f64 v[0:1], v[2:3], v[0:1]
	;; [unrolled: 1-line block ×5, first 2 shown]
	v_add_f64 v[26:27], v[72:73], -v[98:99]
	v_mul_f64 v[28:29], v[2:3], s[20:21]
	v_add_f64 v[22:23], v[30:31], v[22:23]
	v_fma_f64 v[30:31], s[30:31], v[26:27], v[28:29]
	v_fmac_f64_e32 v[28:29], s[14:15], v[26:27]
	v_add_f64 v[8:9], v[28:29], v[8:9]
	v_mul_f64 v[28:29], v[2:3], s[28:29]
	v_add_f64 v[10:11], v[30:31], v[10:11]
	v_fma_f64 v[30:31], s[26:27], v[26:27], v[28:29]
	v_fmac_f64_e32 v[28:29], s[34:35], v[26:27]
	v_add_f64 v[12:13], v[28:29], v[12:13]
	;; [unrolled: 5-line block ×3, first 2 shown]
	v_mul_f64 v[28:29], v[2:3], s[12:13]
	v_add_f64 v[18:19], v[30:31], v[18:19]
	v_fma_f64 v[30:31], s[36:37], v[26:27], v[28:29]
	v_fmac_f64_e32 v[28:29], s[4:5], v[26:27]
	v_mul_f64 v[2:3], v[2:3], s[24:25]
	v_add_f64 v[20:21], v[28:29], v[20:21]
	v_fma_f64 v[28:29], s[40:41], v[26:27], v[2:3]
	v_fmac_f64_e32 v[2:3], s[22:23], v[26:27]
	v_add_f64 v[0:1], v[2:3], v[0:1]
	v_add_f64 v[2:3], v[68:69], v[54:55]
	;; [unrolled: 1-line block ×3, first 2 shown]
	v_add_f64 v[26:27], v[32:33], -v[92:93]
	v_mul_f64 v[28:29], v[2:3], s[24:25]
	v_add_f64 v[22:23], v[30:31], v[22:23]
	v_fma_f64 v[30:31], s[40:41], v[26:27], v[28:29]
	v_fmac_f64_e32 v[28:29], s[22:23], v[26:27]
	v_add_f64 v[8:9], v[28:29], v[8:9]
	v_mul_f64 v[28:29], v[2:3], s[20:21]
	v_add_f64 v[10:11], v[30:31], v[10:11]
	v_fma_f64 v[30:31], s[14:15], v[26:27], v[28:29]
	v_fmac_f64_e32 v[28:29], s[30:31], v[26:27]
	v_add_f64 v[12:13], v[28:29], v[12:13]
	;; [unrolled: 5-line block ×3, first 2 shown]
	v_mul_f64 v[28:29], v[2:3], s[28:29]
	v_add_f64 v[18:19], v[30:31], v[18:19]
	v_fma_f64 v[30:31], s[34:35], v[26:27], v[28:29]
	v_fmac_f64_e32 v[28:29], s[26:27], v[26:27]
	v_mul_f64 v[2:3], v[2:3], s[18:19]
	v_add_f64 v[20:21], v[28:29], v[20:21]
	v_fma_f64 v[28:29], s[10:11], v[26:27], v[2:3]
	v_fmac_f64_e32 v[2:3], s[38:39], v[26:27]
	v_add_f64 v[0:1], v[2:3], v[0:1]
	v_add_f64 v[2:3], v[58:59], v[48:49]
	;; [unrolled: 1-line block ×3, first 2 shown]
	v_add_f64 v[26:27], v[82:83], -v[102:103]
	v_mul_f64 v[28:29], v[2:3], s[28:29]
	v_add_f64 v[22:23], v[30:31], v[22:23]
	v_fma_f64 v[30:31], s[34:35], v[26:27], v[28:29]
	v_fmac_f64_e32 v[28:29], s[26:27], v[26:27]
	v_add_f64 v[72:73], v[28:29], v[8:9]
	v_mul_f64 v[8:9], v[2:3], s[12:13]
	v_add_f64 v[68:69], v[30:31], v[10:11]
	v_fma_f64 v[10:11], s[4:5], v[26:27], v[8:9]
	v_fmac_f64_e32 v[8:9], s[36:37], v[26:27]
	v_add_f64 v[82:83], v[8:9], v[12:13]
	;; [unrolled: 5-line block ×3, first 2 shown]
	v_mul_f64 v[8:9], v[2:3], s[18:19]
	v_add_f64 v[86:87], v[10:11], v[18:19]
	v_fma_f64 v[10:11], s[10:11], v[26:27], v[8:9]
	v_fmac_f64_e32 v[8:9], s[38:39], v[26:27]
	v_mul_f64 v[2:3], v[2:3], s[20:21]
	v_add_f64 v[102:103], v[8:9], v[20:21]
	v_fma_f64 v[8:9], s[30:31], v[26:27], v[2:3]
	v_fmac_f64_e32 v[2:3], s[14:15], v[26:27]
	v_add_f64 v[118:119], v[2:3], v[0:1]
	v_add_u32_e32 v142, 0x800, v231
	v_add_u32_e32 v155, 0x1400, v231
	;; [unrolled: 1-line block ×6, first 2 shown]
	v_accvgpr_read_b32 v138, a5
	v_add_u32_e32 v157, 0xc00, v231
	v_add_u32_e32 v158, 0x2400, v231
	v_accvgpr_read_b32 v134, a3
	v_lshl_add_u32 v0, v230, 3, 0
	v_add_f64 v[98:99], v[10:11], v[22:23]
	v_add_f64 v[108:109], v[8:9], v[24:25]
	s_waitcnt lgkmcnt(0)
	; wave barrier
	s_waitcnt lgkmcnt(0)
	ds_read_b64 v[130:131], v231
	ds_read_b64 v[126:127], v138
	ds_read2_b64 v[56:59], v142 offset0:129 offset1:184
	ds_read2_b64 v[8:11], v155 offset0:75 offset1:130
	;; [unrolled: 1-line block ×8, first 2 shown]
	ds_read_b64 v[128:129], v134
	ds_read2_b64 v[32:35], v153 offset0:167 offset1:222
	ds_read2_b64 v[24:27], v154 offset0:169 offset1:224
	v_accvgpr_read_b32 v160, a2
	v_accvgpr_read_b32 v135, a4
	v_add_u32_e32 v159, 0x1000, v231
	v_add_u32_e32 v161, 0x2800, v231
	;; [unrolled: 1-line block ×4, first 2 shown]
	v_lshl_add_u32 v139, v160, 3, 0
	ds_read_b64 v[132:133], v135
	ds_read_b64 v[124:125], v139
	ds_read2_b64 v[28:31], v159 offset0:93 offset1:148
	ds_read2_b64 v[20:23], v161 offset0:95 offset1:150
	v_accvgpr_write_b32 a10, v0
	ds_read2_b64 v[0:3], v166 offset0:19 offset1:74
	ds_read2_b64 v[16:19], v152 offset0:21 offset1:76
	v_accvgpr_write_b32 a11, v12
	ds_read2_b64 v[12:15], v12 offset0:23 offset1:78
	s_waitcnt lgkmcnt(0)
	; wave barrier
	s_waitcnt lgkmcnt(0)
	ds_write2_b64 v217, v[202:203], v[74:75] offset1:7
	ds_write2_b64 v217, v[90:91], v[106:107] offset0:14 offset1:21
	ds_write2_b64 v217, v[120:121], v[146:147] offset0:28 offset1:35
	ds_write2_b64 v217, v[148:149], v[136:137] offset0:42 offset1:49
	ds_write2_b64 v217, v[110:111], v[94:95] offset0:56 offset1:63
	ds_write_b64 v217, v[70:71] offset:560
	ds_write2_b64 v224, v[150:151], v[6:7] offset1:7
	ds_write2_b64 v224, v[62:63], v[80:81] offset0:14 offset1:21
	ds_write2_b64 v224, v[96:97], v[112:113] offset0:28 offset1:35
	ds_write2_b64 v224, v[116:117], v[100:101] offset0:42 offset1:49
	ds_write2_b64 v224, v[84:85], v[64:65] offset0:56 offset1:63
	ds_write_b64 v224, v[4:5] offset:560
	;; [unrolled: 6-line block ×3, first 2 shown]
	s_and_saveexec_b64 s[4:5], s[0:1]
	s_cbranch_execz .LBB0_21
; %bb.20:
	s_mov_b32 s0, 0x8764f0ba
	s_mov_b32 s12, 0xd9c712b6
	s_mov_b32 s22, 0x640f44db
	s_mov_b32 s28, 0x7f775887
	s_mov_b32 s34, 0x9bcd5057
	v_add_f64 v[6:7], v[182:183], v[200:201]
	s_mov_b32 s1, 0x3feaeb8c
	s_mov_b32 s10, 0xf8bb580b
	;; [unrolled: 1-line block ×10, first 2 shown]
	v_add_f64 v[62:63], v[178:179], -v[198:199]
	v_mul_f64 v[64:65], v[6:7], s[0:1]
	s_mov_b32 s11, 0x3fe14ced
	s_mov_b32 s19, 0xbfe14ced
	s_mov_b32 s18, s10
	v_mul_f64 v[70:71], v[6:7], s[12:13]
	s_mov_b32 s15, 0x3fed1bb4
	s_mov_b32 s21, 0xbfed1bb4
	s_mov_b32 s20, s14
	;; [unrolled: 4-line block ×3, first 2 shown]
	v_mul_f64 v[80:81], v[6:7], s[28:29]
	s_mov_b32 s31, 0xbfe82f19
	s_mov_b32 s30, s40
	v_mul_f64 v[6:7], v[6:7], s[34:35]
	s_mov_b32 s37, 0x3fd207e7
	s_mov_b32 s39, 0xbfd207e7
	s_mov_b32 s38, s36
	v_fma_f64 v[68:69], s[10:11], v[62:63], v[64:65]
	v_fmac_f64_e32 v[64:65], s[18:19], v[62:63]
	v_fma_f64 v[72:73], s[14:15], v[62:63], v[70:71]
	v_fmac_f64_e32 v[70:71], s[20:21], v[62:63]
	;; [unrolled: 2-line block ×5, first 2 shown]
	v_add_f64 v[62:63], v[104:105], v[196:197]
	v_add_f64 v[86:87], v[88:89], -v[194:195]
	v_mul_f64 v[88:89], v[62:63], s[12:13]
	v_add_f64 v[64:65], v[140:141], v[64:65]
	v_fma_f64 v[90:91], s[14:15], v[86:87], v[88:89]
	v_fmac_f64_e32 v[88:89], s[20:21], v[86:87]
	v_add_f64 v[68:69], v[140:141], v[68:69]
	v_add_f64 v[64:65], v[88:89], v[64:65]
	v_mul_f64 v[88:89], v[62:63], s[28:29]
	v_add_f64 v[70:71], v[140:141], v[70:71]
	v_add_f64 v[68:69], v[90:91], v[68:69]
	v_fma_f64 v[90:91], s[40:41], v[86:87], v[88:89]
	v_fmac_f64_e32 v[88:89], s[30:31], v[86:87]
	v_add_f64 v[72:73], v[140:141], v[72:73]
	v_add_f64 v[70:71], v[88:89], v[70:71]
	v_mul_f64 v[88:89], v[62:63], s[34:35]
	v_add_f64 v[74:75], v[140:141], v[74:75]
	v_add_f64 v[72:73], v[90:91], v[72:73]
	v_fma_f64 v[90:91], s[38:39], v[86:87], v[88:89]
	v_fmac_f64_e32 v[88:89], s[36:37], v[86:87]
	v_add_f64 v[76:77], v[140:141], v[76:77]
	v_add_f64 v[74:75], v[88:89], v[74:75]
	v_mul_f64 v[88:89], v[62:63], s[22:23]
	v_accvgpr_read_b32 v95, a9
	v_add_f64 v[80:81], v[140:141], v[80:81]
	v_add_f64 v[76:77], v[90:91], v[76:77]
	v_fma_f64 v[90:91], s[26:27], v[86:87], v[88:89]
	v_fmac_f64_e32 v[88:89], s[24:25], v[86:87]
	v_mul_f64 v[62:63], v[62:63], s[0:1]
	v_accvgpr_read_b32 v94, a8
	v_add_f64 v[6:7], v[140:141], v[6:7]
	v_add_f64 v[80:81], v[88:89], v[80:81]
	v_fma_f64 v[88:89], s[18:19], v[86:87], v[62:63]
	v_fmac_f64_e32 v[62:63], s[10:11], v[86:87]
	v_add_f64 v[6:7], v[62:63], v[6:7]
	v_add_f64 v[62:63], v[94:95], v[186:187]
	;; [unrolled: 1-line block ×3, first 2 shown]
	v_add_f64 v[78:79], v[78:79], -v[184:185]
	v_mul_f64 v[86:87], v[62:63], s[22:23]
	v_add_f64 v[84:85], v[88:89], v[84:85]
	v_fma_f64 v[88:89], s[24:25], v[78:79], v[86:87]
	v_fmac_f64_e32 v[86:87], s[26:27], v[78:79]
	v_add_f64 v[64:65], v[86:87], v[64:65]
	v_mul_f64 v[86:87], v[62:63], s[34:35]
	v_add_f64 v[68:69], v[88:89], v[68:69]
	v_fma_f64 v[88:89], s[38:39], v[78:79], v[86:87]
	v_fmac_f64_e32 v[86:87], s[36:37], v[78:79]
	v_add_f64 v[70:71], v[86:87], v[70:71]
	;; [unrolled: 5-line block ×3, first 2 shown]
	v_mul_f64 v[86:87], v[62:63], s[0:1]
	v_accvgpr_read_b32 v93, a7
	v_add_f64 v[76:77], v[88:89], v[76:77]
	v_fma_f64 v[88:89], s[10:11], v[78:79], v[86:87]
	v_fmac_f64_e32 v[86:87], s[18:19], v[78:79]
	v_mul_f64 v[62:63], v[62:63], s[28:29]
	v_accvgpr_read_b32 v92, a6
	v_add_f64 v[80:81], v[86:87], v[80:81]
	v_fma_f64 v[86:87], s[40:41], v[78:79], v[62:63]
	v_fmac_f64_e32 v[62:63], s[30:31], v[78:79]
	v_add_f64 v[6:7], v[62:63], v[6:7]
	v_add_f64 v[62:63], v[92:93], v[180:181]
	v_add_f64 v[60:61], v[60:61], -v[176:177]
	v_mul_f64 v[78:79], v[62:63], s[28:29]
	v_add_f64 v[84:85], v[86:87], v[84:85]
	v_fma_f64 v[86:87], s[40:41], v[60:61], v[78:79]
	v_fmac_f64_e32 v[78:79], s[30:31], v[60:61]
	v_add_f64 v[64:65], v[78:79], v[64:65]
	v_mul_f64 v[78:79], v[62:63], s[22:23]
	v_add_f64 v[68:69], v[86:87], v[68:69]
	v_fma_f64 v[86:87], s[26:27], v[60:61], v[78:79]
	v_fmac_f64_e32 v[78:79], s[24:25], v[60:61]
	v_add_f64 v[70:71], v[78:79], v[70:71]
	;; [unrolled: 5-line block ×3, first 2 shown]
	v_mul_f64 v[78:79], v[62:63], s[34:35]
	v_add_f64 v[76:77], v[86:87], v[76:77]
	v_fma_f64 v[86:87], s[36:37], v[60:61], v[78:79]
	v_fmac_f64_e32 v[78:79], s[38:39], v[60:61]
	v_mul_f64 v[62:63], v[62:63], s[12:13]
	v_add_f64 v[78:79], v[78:79], v[80:81]
	v_fma_f64 v[80:81], s[20:21], v[60:61], v[62:63]
	v_fmac_f64_e32 v[62:63], s[14:15], v[60:61]
	v_add_f64 v[60:61], v[114:115], v[174:175]
	v_add_f64 v[6:7], v[62:63], v[6:7]
	v_add_f64 v[62:63], v[66:67], -v[172:173]
	v_mul_f64 v[66:67], v[60:61], s[34:35]
	v_add_f64 v[80:81], v[80:81], v[84:85]
	v_fma_f64 v[84:85], s[36:37], v[62:63], v[66:67]
	v_fmac_f64_e32 v[66:67], s[38:39], v[62:63]
	v_add_f64 v[4:5], v[140:141], v[182:183]
	v_add_f64 v[64:65], v[66:67], v[64:65]
	v_mul_f64 v[66:67], v[60:61], s[0:1]
	v_add_f64 v[4:5], v[4:5], v[104:105]
	v_add_f64 v[68:69], v[84:85], v[68:69]
	v_fma_f64 v[84:85], s[18:19], v[62:63], v[66:67]
	v_fmac_f64_e32 v[66:67], s[10:11], v[62:63]
	v_add_f64 v[4:5], v[4:5], v[94:95]
	v_add_f64 v[66:67], v[66:67], v[70:71]
	v_mul_f64 v[70:71], v[60:61], s[28:29]
	v_add_f64 v[4:5], v[4:5], v[92:93]
	v_add_f64 v[72:73], v[84:85], v[72:73]
	v_fma_f64 v[84:85], s[40:41], v[62:63], v[70:71]
	v_fmac_f64_e32 v[70:71], s[30:31], v[62:63]
	v_add_f64 v[4:5], v[4:5], v[114:115]
	v_add_f64 v[70:71], v[70:71], v[74:75]
	v_mul_f64 v[74:75], v[60:61], s[12:13]
	v_add_f64 v[4:5], v[4:5], v[174:175]
	v_add_f64 v[76:77], v[84:85], v[76:77]
	v_fma_f64 v[84:85], s[20:21], v[62:63], v[74:75]
	v_fmac_f64_e32 v[74:75], s[14:15], v[62:63]
	v_mul_f64 v[60:61], v[60:61], s[22:23]
	v_add_f64 v[4:5], v[4:5], v[180:181]
	v_add_f64 v[82:83], v[140:141], v[82:83]
	;; [unrolled: 1-line block ×3, first 2 shown]
	v_fma_f64 v[78:79], s[24:25], v[62:63], v[60:61]
	v_fmac_f64_e32 v[60:61], s[26:27], v[62:63]
	v_add_f64 v[4:5], v[4:5], v[186:187]
	v_add_f64 v[82:83], v[90:91], v[82:83]
	;; [unrolled: 1-line block ×3, first 2 shown]
	v_mov_b32_e32 v61, 3
	v_add_f64 v[4:5], v[4:5], v[196:197]
	v_add_f64 v[82:83], v[88:89], v[82:83]
	v_mul_u32_u24_e32 v60, 0x268, v204
	v_lshlrev_b32_sdwa v61, v61, v208 dst_sel:DWORD dst_unused:UNUSED_PAD src0_sel:DWORD src1_sel:BYTE_0
	v_add_f64 v[4:5], v[4:5], v[200:201]
	v_add_f64 v[82:83], v[86:87], v[82:83]
	v_add3_u32 v60, 0, v60, v61
	v_add_f64 v[82:83], v[84:85], v[82:83]
	v_add_f64 v[78:79], v[78:79], v[80:81]
	ds_write2_b64 v60, v[4:5], v[68:69] offset1:7
	ds_write2_b64 v60, v[72:73], v[76:77] offset0:14 offset1:21
	ds_write2_b64 v60, v[82:83], v[78:79] offset0:28 offset1:35
	;; [unrolled: 1-line block ×4, first 2 shown]
	ds_write_b64 v60, v[64:65] offset:560
.LBB0_21:
	s_or_b64 exec, exec, s[4:5]
	v_lshlrev_b32_e32 v184, 2, v230
	v_mov_b32_e32 v185, 0
	v_subrev_u32_e32 v4, 22, v230
	v_cmp_gt_u32_e64 s[0:1], 22, v230
	v_lshl_add_u64 v[6:7], v[184:185], 4, s[8:9]
	s_waitcnt lgkmcnt(0)
	v_cndmask_b32_e64 v4, v4, v205, s[0:1]
	; wave barrier
	global_load_dwordx4 v[72:75], v[6:7], off offset:1120
	global_load_dwordx4 v[68:71], v[6:7], off offset:1152
	v_lshlrev_b32_e32 v184, 2, v4
	v_accvgpr_write_b32 a14, v4
	v_lshl_add_u64 v[4:5], v[184:185], 4, s[8:9]
	global_load_dwordx4 v[104:107], v[4:5], off offset:1120
	global_load_dwordx4 v[100:103], v[4:5], off offset:1136
	;; [unrolled: 1-line block ×4, first 2 shown]
	s_movk_i32 s0, 0xd5
	v_mov_b32_e32 v5, v142
	v_accvgpr_read_b32 v60, a0
	v_accvgpr_write_b32 a15, v5
	v_mul_lo_u16_sdwa v5, v60, s0 dst_sel:DWORD dst_unused:UNUSED_PAD src0_sel:BYTE_0 src1_sel:DWORD
	v_lshrrev_b16_e32 v61, 14, v5
	v_mul_lo_u16_e32 v5, 0x4d, v61
	v_mov_b32_e32 v4, 6
	v_sub_u16_e32 v5, v60, v5
	v_lshlrev_b32_sdwa v4, v4, v5 dst_sel:DWORD dst_unused:UNUSED_PAD src0_sel:DWORD src1_sel:BYTE_0
	global_load_dwordx4 v[88:91], v4, s[8:9] offset:1136
	v_accvgpr_read_b32 v108, a1
	v_accvgpr_write_b32 a17, v5
	v_mul_lo_u16_sdwa v5, v108, s0 dst_sel:DWORD dst_unused:UNUSED_PAD src0_sel:BYTE_0 src1_sel:DWORD
	v_lshrrev_b16_e32 v5, 14, v5
	v_mul_lo_u16_e32 v5, 0x4d, v5
	v_sub_u16_e32 v5, v108, v5
	v_and_b32_e32 v108, 0xff, v5
	v_accvgpr_mov_b32 a6, a0
	v_accvgpr_mov_b32 a8, a1
	v_lshlrev_b32_e32 v5, 6, v108
	v_accvgpr_write_b32 a0, v6
	s_movk_i32 s0, 0x1a99
	v_add_u32_e32 v136, 0x113, v230
	ds_read2_b64 v[142:145], v142 offset0:129 offset1:184
	ds_read2_b64 v[64:67], v155 offset0:75 offset1:130
	v_accvgpr_write_b32 a16, v61
	ds_read2_b64 v[146:149], v152 offset0:131 offset1:186
	ds_read2_b64 v[60:63], v156 offset0:77 offset1:132
	;; [unrolled: 1-line block ×3, first 2 shown]
	global_load_dwordx4 v[84:87], v4, s[8:9] offset:1168
	ds_read2_b64 v[92:95], v154 offset0:59 offset1:114
	ds_read_b64 v[150:151], v135
	ds_read_b64 v[140:141], v138
	global_load_dwordx4 v[194:197], v4, s[8:9] offset:1120
	global_load_dwordx4 v[120:123], v5, s[8:9] offset:1136
	;; [unrolled: 1-line block ×3, first 2 shown]
	ds_read2_b64 v[222:225], v157 offset0:111 offset1:166
	ds_read2_b64 v[116:119], v158 offset0:113 offset1:168
	v_mov_b32_e32 v167, v152
	v_mov_b32_e32 v184, v153
	ds_read_b64 v[152:153], v134
	ds_read2_b64 v[112:115], v184 offset0:167 offset1:222
	global_load_dwordx4 v[226:229], v[6:7], off offset:1136
	global_load_dwordx4 v[236:239], v[6:7], off offset:1168
	v_accvgpr_write_b32 a1, v7
	v_mul_u32_u24_sdwa v6, v160, s0 dst_sel:DWORD dst_unused:UNUSED_PAD src0_sel:WORD_0 src1_sel:DWORD
	v_mul_u32_u24_sdwa v7, v136, s0 dst_sel:DWORD dst_unused:UNUSED_PAD src0_sel:WORD_0 src1_sel:DWORD
	v_lshrrev_b32_e32 v134, 19, v6
	global_load_dwordx4 v[240:243], v4, s[8:9] offset:1152
	v_lshrrev_b32_e32 v6, 19, v7
	v_mul_lo_u16_e32 v4, 0x4d, v134
	v_accvgpr_write_b32 a28, v134
	v_mul_lo_u16_e32 v134, 0x4d, v6
	v_accvgpr_write_b32 a23, v6
	v_sub_u16_e32 v6, v160, v4
	v_lshlrev_b32_e32 v4, 6, v6
	v_accvgpr_write_b32 a2, v205
	v_accvgpr_write_b32 a22, v108
	ds_read2_b64 v[108:111], v154 offset0:169 offset1:224
	v_accvgpr_write_b32 a20, v156
	v_accvgpr_write_b32 a19, v157
	ds_read_b64 v[156:157], v231
	v_accvgpr_write_b32 a18, v154
	v_accvgpr_write_b32 a21, v155
	ds_read_b64 v[154:155], v139
	global_load_dwordx4 v[244:247], v5, s[8:9] offset:1168
	global_load_dwordx4 v[248:251], v5, s[8:9] offset:1152
	;; [unrolled: 1-line block ×6, first 2 shown]
	v_accvgpr_write_b32 a29, v6
	v_accvgpr_write_b32 a7, v139
	v_add_u32_e32 v162, 0x14a, v230
	v_accvgpr_write_b32 a9, v136
	v_accvgpr_write_b32 a34, v158
	;; [unrolled: 1-line block ×6, first 2 shown]
	s_mov_b32 s4, 0x134454ff
	s_mov_b32 s5, 0xbfee6f0e
	;; [unrolled: 1-line block ×4, first 2 shown]
	s_waitcnt vmcnt(19) lgkmcnt(14)
	v_mul_f64 v[172:173], v[142:143], v[74:75]
	v_mul_f64 v[4:5], v[56:57], v[74:75]
	s_waitcnt vmcnt(18) lgkmcnt(12)
	v_mul_f64 v[174:175], v[146:147], v[70:71]
	v_mul_f64 v[6:7], v[52:53], v[70:71]
	v_fmac_f64_e32 v[172:173], v[56:57], v[72:73]
	v_fma_f64 v[56:57], v[142:143], v[72:73], -v[4:5]
	s_waitcnt vmcnt(17)
	v_mul_f64 v[4:5], v[58:59], v[106:107]
	v_fmac_f64_e32 v[174:175], v[52:53], v[68:69]
	v_fma_f64 v[68:69], v[146:147], v[68:69], -v[6:7]
	v_mul_f64 v[138:139], v[144:145], v[106:107]
	s_waitcnt vmcnt(16) lgkmcnt(10)
	v_mul_f64 v[142:143], v[96:97], v[102:103]
	v_mul_f64 v[6:7], v[48:49], v[102:103]
	v_fma_f64 v[106:107], v[144:145], v[104:105], -v[4:5]
	v_sub_u16_e32 v4, v136, v134
	v_fmac_f64_e32 v[142:143], v[48:49], v[100:101]
	v_fma_f64 v[100:101], v[96:97], v[100:101], -v[6:7]
	v_lshlrev_b32_e32 v6, 6, v4
	v_accvgpr_write_b32 a30, v4
	s_waitcnt vmcnt(15)
	v_mul_f64 v[4:5], v[54:55], v[82:83]
	v_mul_f64 v[146:147], v[148:149], v[82:83]
	v_fma_f64 v[148:149], v[148:149], v[80:81], -v[4:5]
	s_waitcnt vmcnt(14)
	v_mul_f64 v[4:5], v[44:45], v[78:79]
	s_waitcnt lgkmcnt(9)
	v_mul_f64 v[168:169], v[92:93], v[78:79]
	v_fma_f64 v[92:93], v[92:93], v[76:77], -v[4:5]
	v_mul_u32_u24_sdwa v4, v162, s0 dst_sel:DWORD dst_unused:UNUSED_PAD src0_sel:WORD_0 src1_sel:DWORD
	v_lshrrev_b32_e32 v4, 19, v4
	v_mul_lo_u16_e32 v4, 0x4d, v4
	global_load_dwordx4 v[210:213], v6, s[8:9] offset:1136
	global_load_dwordx4 v[214:217], v6, s[8:9] offset:1120
	v_sub_u16_e32 v4, v162, v4
	global_load_dwordx4 v[190:193], v6, s[8:9] offset:1168
	global_load_dwordx4 v[134:137], v6, s[8:9] offset:1152
	v_lshlrev_b32_e32 v6, 6, v4
	v_accvgpr_write_b32 a31, v4
	s_waitcnt vmcnt(17)
	v_mul_f64 v[4:5], v[50:51], v[90:91]
	v_fmac_f64_e32 v[146:147], v[54:55], v[80:81]
	global_load_dwordx4 v[176:179], v6, s[8:9] offset:1136
	global_load_dwordx4 v[180:183], v6, s[8:9] offset:1120
	ds_read2_b64 v[52:55], v159 offset0:93 offset1:148
	v_fma_f64 v[144:145], v[98:99], v[88:89], -v[4:5]
	global_load_dwordx4 v[232:235], v6, s[8:9] offset:1168
	s_nop 0
	global_load_dwordx4 v[4:7], v6, s[8:9] offset:1152
	v_fmac_f64_e32 v[168:169], v[44:45], v[76:77]
	s_waitcnt vmcnt(20)
	v_mul_f64 v[44:45], v[46:47], v[86:87]
	ds_read2_b64 v[76:79], v161 offset0:95 offset1:150
	v_mul_f64 v[164:165], v[94:95], v[86:87]
	v_fma_f64 v[158:159], v[94:95], v[84:85], -v[44:45]
	s_waitcnt vmcnt(19) lgkmcnt(8)
	v_mul_f64 v[94:95], v[222:223], v[196:197]
	v_fmac_f64_e32 v[94:95], v[40:41], v[194:195]
	v_mul_f64 v[40:41], v[40:41], v[196:197]
	v_mul_f64 v[162:163], v[98:99], v[90:91]
	v_fma_f64 v[160:161], v[222:223], v[194:195], -v[40:41]
	s_waitcnt vmcnt(17)
	v_mul_f64 v[102:103], v[224:225], v[200:201]
	v_mul_f64 v[40:41], v[42:43], v[200:201]
	s_waitcnt vmcnt(14) lgkmcnt(7)
	v_mul_f64 v[170:171], v[116:117], v[242:243]
	v_accvgpr_read_b32 v223, a11
	v_fmac_f64_e32 v[162:163], v[50:51], v[88:89]
	v_fmac_f64_e32 v[102:103], v[42:43], v[198:199]
	v_fma_f64 v[88:89], v[224:225], v[198:199], -v[40:41]
	v_fmac_f64_e32 v[170:171], v[36:37], v[240:241]
	v_mul_f64 v[36:37], v[36:37], v[242:243]
	ds_read2_b64 v[198:201], v223 offset0:23 offset1:78
	v_fmac_f64_e32 v[164:165], v[46:47], v[84:85]
	ds_read2_b64 v[46:49], v166 offset0:19 offset1:74
	ds_read2_b64 v[194:197], v167 offset0:21 offset1:76
	v_mov_b32_e32 v224, v167
	v_mov_b32_e32 v222, v166
	v_fma_f64 v[166:167], v[116:117], v[240:241], -v[36:37]
	s_waitcnt lgkmcnt(8)
	v_mul_f64 v[116:117], v[112:113], v[122:123]
	s_waitcnt vmcnt(10) lgkmcnt(3)
	v_mul_f64 v[84:85], v[76:77], v[204:205]
	v_mul_f64 v[50:51], v[66:67], v[228:229]
	v_fmac_f64_e32 v[116:117], v[32:33], v[120:121]
	v_mul_f64 v[32:33], v[32:33], v[122:123]
	v_fmac_f64_e32 v[84:85], v[20:21], v[202:203]
	;; [unrolled: 2-line block ×3, first 2 shown]
	v_mul_f64 v[10:11], v[10:11], v[228:229]
	v_fma_f64 v[96:97], v[112:113], v[120:121], -v[32:33]
	v_mul_f64 v[32:33], v[38:39], v[250:251]
	v_fma_f64 v[74:75], v[76:77], v[202:203], -v[20:21]
	v_mul_f64 v[20:21], v[26:27], v[254:255]
	v_fmac_f64_e32 v[138:139], v[58:59], v[104:105]
	v_fma_f64 v[58:59], v[66:67], v[226:227], -v[10:11]
	v_accvgpr_read_b32 v229, a27
	v_mul_f64 v[120:121], v[118:119], v[250:251]
	v_fma_f64 v[104:105], v[118:119], v[248:249], -v[32:33]
	v_mul_f64 v[118:119], v[108:109], v[246:247]
	v_fma_f64 v[76:77], v[110:111], v[252:253], -v[20:21]
	v_accvgpr_read_b32 v228, a26
	v_accvgpr_read_b32 v227, a25
	;; [unrolled: 1-line block ×3, first 2 shown]
	v_fmac_f64_e32 v[118:119], v[24:25], v[244:245]
	v_mul_f64 v[24:25], v[24:25], v[246:247]
	s_waitcnt vmcnt(8)
	v_mul_f64 v[80:81], v[52:53], v[208:209]
	v_mul_f64 v[86:87], v[110:111], v[254:255]
	;; [unrolled: 1-line block ×3, first 2 shown]
	v_fma_f64 v[108:109], v[108:109], v[244:245], -v[24:25]
	v_fmac_f64_e32 v[80:81], v[28:29], v[206:207]
	v_mul_f64 v[24:25], v[28:29], v[208:209]
	v_fmac_f64_e32 v[86:87], v[26:27], v[252:253]
	v_mul_f64 v[10:11], v[62:63], v[238:239]
	v_fma_f64 v[62:63], v[62:63], v[236:237], -v[40:41]
	v_fmac_f64_e32 v[10:11], v[228:229], v[236:237]
	v_mul_f64 v[82:83], v[114:115], v[188:189]
	v_fma_f64 v[70:71], v[52:53], v[206:207], -v[24:25]
	v_fmac_f64_e32 v[82:83], v[34:35], v[186:187]
	v_mul_f64 v[24:25], v[34:35], v[188:189]
	v_fmac_f64_e32 v[120:121], v[38:39], v[248:249]
	s_mov_b32 s14, s4
	s_mov_b32 s11, 0xbfe2cf23
	s_waitcnt vmcnt(7) lgkmcnt(0)
	v_mul_f64 v[44:45], v[194:195], v[212:213]
	s_waitcnt vmcnt(6)
	v_mul_f64 v[20:21], v[30:31], v[216:217]
	v_mul_f64 v[42:43], v[54:55], v[216:217]
	v_fma_f64 v[32:33], v[54:55], v[214:215], -v[20:21]
	s_waitcnt vmcnt(5)
	v_mul_f64 v[54:55], v[198:199], v[192:193]
	v_fmac_f64_e32 v[54:55], v[12:13], v[190:191]
	v_mul_f64 v[12:13], v[12:13], v[192:193]
	s_waitcnt vmcnt(3)
	v_mul_f64 v[26:27], v[196:197], v[178:179]
	v_fma_f64 v[40:41], v[198:199], v[190:191], -v[12:13]
	v_fmac_f64_e32 v[26:27], v[18:19], v[176:177]
	v_mul_f64 v[12:13], v[18:19], v[178:179]
	s_waitcnt vmcnt(0)
	v_mul_f64 v[28:29], v[60:61], v[6:7]
	v_mul_f64 v[6:7], v[226:227], v[6:7]
	v_fmac_f64_e32 v[28:29], v[226:227], v[4:5]
	v_fma_f64 v[18:19], v[60:61], v[4:5], -v[6:7]
	v_mul_f64 v[4:5], v[14:15], v[234:235]
	v_fma_f64 v[20:21], v[200:201], v[232:233], -v[4:5]
	v_add_f64 v[4:5], v[130:131], v[172:173]
	v_add_f64 v[4:5], v[4:5], v[50:51]
	v_fmac_f64_e32 v[42:43], v[30:31], v[214:215]
	v_fmac_f64_e32 v[44:45], v[16:17], v[210:211]
	v_mul_f64 v[16:17], v[16:17], v[212:213]
	v_mul_f64 v[30:31], v[200:201], v[234:235]
	v_add_f64 v[4:5], v[4:5], v[174:175]
	v_fma_f64 v[34:35], v[194:195], v[210:211], -v[16:17]
	v_mul_f64 v[16:17], v[22:23], v[136:137]
	v_fmac_f64_e32 v[30:31], v[14:15], v[232:233]
	v_add_f64 v[14:15], v[4:5], v[10:11]
	v_add_f64 v[4:5], v[50:51], v[174:175]
	v_mul_f64 v[52:53], v[78:79], v[136:137]
	v_fma_f64 v[38:39], v[78:79], v[134:135], -v[16:17]
	v_fma_f64 v[16:17], -0.5, v[4:5], v[130:131]
	v_add_f64 v[4:5], v[56:57], -v[62:63]
	v_fmac_f64_e32 v[52:53], v[22:23], v[134:135]
	v_fma_f64 v[22:23], s[4:5], v[4:5], v[16:17]
	v_add_f64 v[6:7], v[58:59], -v[68:69]
	v_add_f64 v[36:37], v[172:173], -v[50:51]
	;; [unrolled: 1-line block ×3, first 2 shown]
	s_mov_b32 s12, 0x372fe950
	v_fmac_f64_e32 v[16:17], s[14:15], v[4:5]
	s_mov_b32 s19, 0x3fe2cf23
	s_mov_b32 s18, s10
	v_fmac_f64_e32 v[22:23], s[10:11], v[6:7]
	v_add_f64 v[36:37], v[36:37], v[60:61]
	s_mov_b32 s13, 0x3fd3c6ef
	v_fmac_f64_e32 v[16:17], s[18:19], v[6:7]
	v_fma_f64 v[72:73], v[114:115], v[186:187], -v[24:25]
	v_mul_f64 v[24:25], v[64:65], v[182:183]
	v_fmac_f64_e32 v[22:23], s[12:13], v[36:37]
	v_fmac_f64_e32 v[16:17], s[12:13], v[36:37]
	v_add_f64 v[36:37], v[172:173], v[10:11]
	v_fmac_f64_e32 v[24:25], v[8:9], v[180:181]
	v_mul_f64 v[8:9], v[8:9], v[182:183]
	v_fmac_f64_e32 v[130:131], -0.5, v[36:37]
	v_fma_f64 v[8:9], v[64:65], v[180:181], -v[8:9]
	v_fma_f64 v[36:37], s[14:15], v[6:7], v[130:131]
	v_add_f64 v[60:61], v[50:51], -v[172:173]
	v_add_f64 v[64:65], v[174:175], -v[10:11]
	v_fmac_f64_e32 v[130:131], s[4:5], v[6:7]
	v_fmac_f64_e32 v[36:37], s[10:11], v[4:5]
	v_add_f64 v[60:61], v[60:61], v[64:65]
	v_fmac_f64_e32 v[130:131], s[18:19], v[4:5]
	v_add_f64 v[6:7], v[58:59], v[68:69]
	v_fmac_f64_e32 v[36:37], s[12:13], v[60:61]
	v_fmac_f64_e32 v[130:131], s[12:13], v[60:61]
	v_fma_f64 v[6:7], -0.5, v[6:7], v[156:157]
	v_add_f64 v[60:61], v[172:173], -v[10:11]
	v_fma_f64 v[10:11], s[14:15], v[60:61], v[6:7]
	v_add_f64 v[64:65], v[50:51], -v[174:175]
	v_add_f64 v[50:51], v[56:57], -v[58:59]
	;; [unrolled: 1-line block ×3, first 2 shown]
	v_fmac_f64_e32 v[6:7], s[4:5], v[60:61]
	v_fmac_f64_e32 v[10:11], s[18:19], v[64:65]
	v_add_f64 v[50:51], v[50:51], v[66:67]
	v_fmac_f64_e32 v[6:7], s[10:11], v[64:65]
	v_fmac_f64_e32 v[10:11], s[12:13], v[50:51]
	;; [unrolled: 1-line block ×3, first 2 shown]
	v_add_f64 v[50:51], v[56:57], v[62:63]
	v_add_f64 v[4:5], v[156:157], v[56:57]
	v_fmac_f64_e32 v[156:157], -0.5, v[50:51]
	v_add_f64 v[4:5], v[4:5], v[58:59]
	v_fma_f64 v[50:51], s[4:5], v[64:65], v[156:157]
	v_add_f64 v[56:57], v[58:59], -v[56:57]
	v_add_f64 v[58:59], v[68:69], -v[62:63]
	v_fmac_f64_e32 v[156:157], s[14:15], v[64:65]
	v_fmac_f64_e32 v[50:51], s[18:19], v[60:61]
	v_add_f64 v[56:57], v[56:57], v[58:59]
	v_fmac_f64_e32 v[156:157], s[10:11], v[60:61]
	v_fmac_f64_e32 v[50:51], s[12:13], v[56:57]
	;; [unrolled: 1-line block ×3, first 2 shown]
	v_add_f64 v[56:57], v[132:133], v[138:139]
	v_add_f64 v[56:57], v[56:57], v[142:143]
	;; [unrolled: 1-line block ×6, first 2 shown]
	v_fma_f64 v[66:67], -0.5, v[56:57], v[132:133]
	v_add_f64 v[56:57], v[106:107], -v[92:93]
	v_add_f64 v[4:5], v[4:5], v[62:63]
	v_fma_f64 v[68:69], s[4:5], v[56:57], v[66:67]
	v_add_f64 v[58:59], v[100:101], -v[148:149]
	v_add_f64 v[60:61], v[138:139], -v[142:143]
	;; [unrolled: 1-line block ×3, first 2 shown]
	v_fmac_f64_e32 v[66:67], s[14:15], v[56:57]
	v_fmac_f64_e32 v[68:69], s[10:11], v[58:59]
	v_add_f64 v[60:61], v[60:61], v[62:63]
	v_fmac_f64_e32 v[66:67], s[18:19], v[58:59]
	v_fmac_f64_e32 v[68:69], s[12:13], v[60:61]
	;; [unrolled: 1-line block ×3, first 2 shown]
	v_add_f64 v[60:61], v[138:139], v[168:169]
	v_fmac_f64_e32 v[132:133], -0.5, v[60:61]
	v_fma_f64 v[78:79], s[14:15], v[58:59], v[132:133]
	v_add_f64 v[60:61], v[142:143], -v[138:139]
	v_add_f64 v[62:63], v[146:147], -v[168:169]
	v_fmac_f64_e32 v[132:133], s[4:5], v[58:59]
	v_add_f64 v[58:59], v[100:101], v[148:149]
	v_fmac_f64_e32 v[78:79], s[10:11], v[56:57]
	v_add_f64 v[60:61], v[60:61], v[62:63]
	v_fmac_f64_e32 v[132:133], s[18:19], v[56:57]
	v_fma_f64 v[58:59], -0.5, v[58:59], v[150:151]
	v_add_f64 v[90:91], v[138:139], -v[168:169]
	v_fmac_f64_e32 v[78:79], s[12:13], v[60:61]
	v_fmac_f64_e32 v[132:133], s[12:13], v[60:61]
	v_fma_f64 v[60:61], s[14:15], v[90:91], v[58:59]
	v_add_f64 v[98:99], v[142:143], -v[146:147]
	v_add_f64 v[62:63], v[106:107], -v[100:101]
	;; [unrolled: 1-line block ×3, first 2 shown]
	v_fmac_f64_e32 v[58:59], s[4:5], v[90:91]
	v_fmac_f64_e32 v[60:61], s[18:19], v[98:99]
	v_add_f64 v[62:63], v[62:63], v[110:111]
	v_fmac_f64_e32 v[58:59], s[10:11], v[98:99]
	v_fmac_f64_e32 v[60:61], s[12:13], v[62:63]
	;; [unrolled: 1-line block ×3, first 2 shown]
	v_add_f64 v[62:63], v[106:107], v[92:93]
	v_add_f64 v[56:57], v[150:151], v[106:107]
	v_fmac_f64_e32 v[150:151], -0.5, v[62:63]
	v_fma_f64 v[62:63], s[4:5], v[98:99], v[150:151]
	v_fmac_f64_e32 v[150:151], s[14:15], v[98:99]
	v_fmac_f64_e32 v[62:63], s[18:19], v[90:91]
	;; [unrolled: 1-line block ×3, first 2 shown]
	v_add_f64 v[90:91], v[126:127], v[94:95]
	v_add_f64 v[56:57], v[56:57], v[100:101]
	;; [unrolled: 1-line block ×6, first 2 shown]
	v_add_f64 v[100:101], v[100:101], -v[106:107]
	v_add_f64 v[92:93], v[148:149], -v[92:93]
	v_add_f64 v[98:99], v[90:91], v[164:165]
	v_add_f64 v[90:91], v[162:163], v[170:171]
	;; [unrolled: 1-line block ×3, first 2 shown]
	v_fma_f64 v[100:101], -0.5, v[90:91], v[126:127]
	v_add_f64 v[90:91], v[160:161], -v[158:159]
	v_fmac_f64_e32 v[62:63], s[12:13], v[92:93]
	v_fmac_f64_e32 v[150:151], s[12:13], v[92:93]
	v_fma_f64 v[106:107], s[4:5], v[90:91], v[100:101]
	v_add_f64 v[92:93], v[144:145], -v[166:167]
	v_add_f64 v[110:111], v[94:95], -v[162:163]
	;; [unrolled: 1-line block ×3, first 2 shown]
	v_fmac_f64_e32 v[100:101], s[14:15], v[90:91]
	v_fmac_f64_e32 v[106:107], s[10:11], v[92:93]
	v_add_f64 v[110:111], v[110:111], v[112:113]
	v_fmac_f64_e32 v[100:101], s[18:19], v[92:93]
	v_fmac_f64_e32 v[106:107], s[12:13], v[110:111]
	;; [unrolled: 1-line block ×3, first 2 shown]
	v_add_f64 v[110:111], v[94:95], v[164:165]
	v_fmac_f64_e32 v[126:127], -0.5, v[110:111]
	v_fma_f64 v[112:113], s[14:15], v[92:93], v[126:127]
	v_add_f64 v[110:111], v[162:163], -v[94:95]
	v_add_f64 v[114:115], v[170:171], -v[164:165]
	v_fmac_f64_e32 v[126:127], s[4:5], v[92:93]
	v_add_f64 v[92:93], v[144:145], v[166:167]
	v_fmac_f64_e32 v[112:113], s[10:11], v[90:91]
	v_add_f64 v[110:111], v[110:111], v[114:115]
	v_fmac_f64_e32 v[126:127], s[18:19], v[90:91]
	v_fma_f64 v[92:93], -0.5, v[92:93], v[140:141]
	v_add_f64 v[114:115], v[94:95], -v[164:165]
	v_fmac_f64_e32 v[112:113], s[12:13], v[110:111]
	v_fmac_f64_e32 v[126:127], s[12:13], v[110:111]
	v_fma_f64 v[94:95], s[14:15], v[114:115], v[92:93]
	v_add_f64 v[122:123], v[162:163], -v[170:171]
	v_add_f64 v[110:111], v[160:161], -v[144:145]
	v_add_f64 v[134:135], v[158:159], -v[166:167]
	v_fmac_f64_e32 v[92:93], s[4:5], v[114:115]
	v_fmac_f64_e32 v[94:95], s[18:19], v[122:123]
	v_add_f64 v[110:111], v[110:111], v[134:135]
	v_fmac_f64_e32 v[92:93], s[10:11], v[122:123]
	v_fmac_f64_e32 v[94:95], s[12:13], v[110:111]
	v_fmac_f64_e32 v[92:93], s[12:13], v[110:111]
	v_add_f64 v[110:111], v[160:161], v[158:159]
	v_add_f64 v[90:91], v[140:141], v[160:161]
	v_fmac_f64_e32 v[140:141], -0.5, v[110:111]
	v_fma_f64 v[110:111], s[4:5], v[122:123], v[140:141]
	v_fmac_f64_e32 v[140:141], s[14:15], v[122:123]
	v_fmac_f64_e32 v[110:111], s[18:19], v[114:115]
	;; [unrolled: 1-line block ×3, first 2 shown]
	v_add_f64 v[114:115], v[128:129], v[102:103]
	v_add_f64 v[114:115], v[114:115], v[116:117]
	;; [unrolled: 1-line block ×3, first 2 shown]
	v_add_f64 v[134:135], v[144:145], -v[160:161]
	v_add_f64 v[136:137], v[166:167], -v[158:159]
	v_add_f64 v[138:139], v[114:115], v[118:119]
	v_add_f64 v[114:115], v[116:117], v[120:121]
	;; [unrolled: 1-line block ×3, first 2 shown]
	v_fma_f64 v[142:143], -0.5, v[114:115], v[128:129]
	v_add_f64 v[114:115], v[88:89], -v[108:109]
	v_add_f64 v[90:91], v[90:91], v[144:145]
	v_fmac_f64_e32 v[110:111], s[12:13], v[134:135]
	v_fmac_f64_e32 v[140:141], s[12:13], v[134:135]
	v_fma_f64 v[144:145], s[4:5], v[114:115], v[142:143]
	v_add_f64 v[122:123], v[96:97], -v[104:105]
	v_add_f64 v[134:135], v[102:103], -v[116:117]
	;; [unrolled: 1-line block ×3, first 2 shown]
	v_fmac_f64_e32 v[142:143], s[14:15], v[114:115]
	v_fmac_f64_e32 v[144:145], s[10:11], v[122:123]
	v_add_f64 v[134:135], v[134:135], v[136:137]
	v_fmac_f64_e32 v[142:143], s[18:19], v[122:123]
	v_fmac_f64_e32 v[144:145], s[12:13], v[134:135]
	;; [unrolled: 1-line block ×3, first 2 shown]
	v_add_f64 v[134:135], v[102:103], v[118:119]
	v_fmac_f64_e32 v[128:129], -0.5, v[134:135]
	v_fma_f64 v[146:147], s[14:15], v[122:123], v[128:129]
	v_add_f64 v[134:135], v[116:117], -v[102:103]
	v_add_f64 v[136:137], v[120:121], -v[118:119]
	v_fmac_f64_e32 v[128:129], s[4:5], v[122:123]
	v_add_f64 v[122:123], v[96:97], v[104:105]
	v_fmac_f64_e32 v[146:147], s[10:11], v[114:115]
	v_add_f64 v[134:135], v[134:135], v[136:137]
	v_fmac_f64_e32 v[128:129], s[18:19], v[114:115]
	v_fma_f64 v[122:123], -0.5, v[122:123], v[152:153]
	v_add_f64 v[102:103], v[102:103], -v[118:119]
	v_fmac_f64_e32 v[146:147], s[12:13], v[134:135]
	v_fmac_f64_e32 v[128:129], s[12:13], v[134:135]
	v_fma_f64 v[118:119], s[14:15], v[102:103], v[122:123]
	v_add_f64 v[120:121], v[116:117], -v[120:121]
	v_add_f64 v[116:117], v[88:89], -v[96:97]
	;; [unrolled: 1-line block ×3, first 2 shown]
	v_fmac_f64_e32 v[122:123], s[4:5], v[102:103]
	v_fmac_f64_e32 v[118:119], s[18:19], v[120:121]
	v_add_f64 v[116:117], v[116:117], v[134:135]
	v_fmac_f64_e32 v[122:123], s[10:11], v[120:121]
	v_add_f64 v[114:115], v[152:153], v[88:89]
	v_fmac_f64_e32 v[118:119], s[12:13], v[116:117]
	v_fmac_f64_e32 v[122:123], s[12:13], v[116:117]
	v_add_f64 v[116:117], v[88:89], v[108:109]
	v_add_f64 v[114:115], v[114:115], v[96:97]
	v_fmac_f64_e32 v[152:153], -0.5, v[116:117]
	v_add_f64 v[88:89], v[96:97], -v[88:89]
	v_add_f64 v[96:97], v[104:105], -v[108:109]
	v_fma_f64 v[116:117], s[4:5], v[120:121], v[152:153]
	v_add_f64 v[88:89], v[88:89], v[96:97]
	v_fmac_f64_e32 v[152:153], s[14:15], v[120:121]
	v_add_f64 v[96:97], v[82:83], v[84:85]
	v_add_f64 v[114:115], v[114:115], v[104:105]
	v_fmac_f64_e32 v[116:117], s[18:19], v[102:103]
	v_fmac_f64_e32 v[152:153], s[10:11], v[102:103]
	v_fma_f64 v[102:103], -0.5, v[96:97], v[124:125]
	v_add_f64 v[96:97], v[70:71], -v[76:77]
	v_add_f64 v[114:115], v[114:115], v[108:109]
	v_fma_f64 v[104:105], s[4:5], v[96:97], v[102:103]
	v_add_f64 v[108:109], v[72:73], -v[74:75]
	v_add_f64 v[120:121], v[80:81], -v[82:83]
	;; [unrolled: 1-line block ×3, first 2 shown]
	v_fmac_f64_e32 v[102:103], s[14:15], v[96:97]
	v_fmac_f64_e32 v[104:105], s[10:11], v[108:109]
	v_add_f64 v[120:121], v[120:121], v[134:135]
	v_fmac_f64_e32 v[102:103], s[18:19], v[108:109]
	v_fmac_f64_e32 v[104:105], s[12:13], v[120:121]
	;; [unrolled: 1-line block ×3, first 2 shown]
	v_add_f64 v[120:121], v[80:81], v[86:87]
	v_fmac_f64_e32 v[116:117], s[12:13], v[88:89]
	v_fmac_f64_e32 v[152:153], s[12:13], v[88:89]
	v_add_f64 v[88:89], v[124:125], v[80:81]
	v_fmac_f64_e32 v[124:125], -0.5, v[120:121]
	v_fma_f64 v[134:135], s[14:15], v[108:109], v[124:125]
	v_add_f64 v[120:121], v[82:83], -v[80:81]
	v_add_f64 v[136:137], v[84:85], -v[86:87]
	v_fmac_f64_e32 v[124:125], s[4:5], v[108:109]
	v_add_f64 v[88:89], v[88:89], v[82:83]
	v_fmac_f64_e32 v[134:135], s[10:11], v[96:97]
	v_add_f64 v[120:121], v[120:121], v[136:137]
	;; [unrolled: 2-line block ×3, first 2 shown]
	v_add_f64 v[90:91], v[90:91], v[166:167]
	v_add_f64 v[88:89], v[88:89], v[84:85]
	v_fmac_f64_e32 v[134:135], s[12:13], v[120:121]
	v_fmac_f64_e32 v[124:125], s[12:13], v[120:121]
	v_fma_f64 v[120:121], -0.5, v[108:109], v[154:155]
	v_add_f64 v[80:81], v[80:81], -v[86:87]
	v_add_f64 v[90:91], v[90:91], v[158:159]
	v_add_f64 v[88:89], v[88:89], v[86:87]
	v_fma_f64 v[158:159], s[14:15], v[80:81], v[120:121]
	v_add_f64 v[82:83], v[82:83], -v[84:85]
	v_add_f64 v[84:85], v[70:71], -v[72:73]
	;; [unrolled: 1-line block ×3, first 2 shown]
	v_fmac_f64_e32 v[120:121], s[4:5], v[80:81]
	v_add_f64 v[96:97], v[154:155], v[70:71]
	v_fmac_f64_e32 v[158:159], s[18:19], v[82:83]
	v_add_f64 v[84:85], v[84:85], v[86:87]
	;; [unrolled: 2-line block ×3, first 2 shown]
	v_fmac_f64_e32 v[158:159], s[12:13], v[84:85]
	v_fmac_f64_e32 v[120:121], s[12:13], v[84:85]
	v_add_f64 v[84:85], v[70:71], v[76:77]
	v_add_f64 v[70:71], v[72:73], -v[70:71]
	v_add_f64 v[72:73], v[74:75], -v[76:77]
	v_fmac_f64_e32 v[154:155], -0.5, v[84:85]
	v_add_f64 v[70:71], v[70:71], v[72:73]
	v_add_f64 v[72:73], v[44:45], v[52:53]
	;; [unrolled: 1-line block ×3, first 2 shown]
	v_fma_f64 v[136:137], s[4:5], v[82:83], v[154:155]
	v_fmac_f64_e32 v[154:155], s[14:15], v[82:83]
	v_fma_f64 v[72:73], -0.5, v[72:73], v[0:1]
	v_add_f64 v[74:75], v[32:33], -v[40:41]
	v_add_f64 v[96:97], v[96:97], v[76:77]
	v_fmac_f64_e32 v[136:137], s[18:19], v[80:81]
	v_fmac_f64_e32 v[154:155], s[10:11], v[80:81]
	v_fma_f64 v[76:77], s[4:5], v[74:75], v[72:73]
	v_add_f64 v[80:81], v[34:35], -v[38:39]
	v_add_f64 v[82:83], v[42:43], -v[44:45]
	;; [unrolled: 1-line block ×3, first 2 shown]
	v_fmac_f64_e32 v[72:73], s[14:15], v[74:75]
	v_fmac_f64_e32 v[76:77], s[10:11], v[80:81]
	v_add_f64 v[82:83], v[82:83], v[84:85]
	v_fmac_f64_e32 v[72:73], s[18:19], v[80:81]
	v_fmac_f64_e32 v[76:77], s[12:13], v[82:83]
	;; [unrolled: 1-line block ×3, first 2 shown]
	v_add_f64 v[82:83], v[42:43], v[54:55]
	v_fmac_f64_e32 v[136:137], s[12:13], v[70:71]
	v_fmac_f64_e32 v[154:155], s[12:13], v[70:71]
	v_add_f64 v[70:71], v[0:1], v[42:43]
	v_fma_f64 v[0:1], -0.5, v[82:83], v[0:1]
	v_fma_f64 v[82:83], s[14:15], v[80:81], v[0:1]
	v_fmac_f64_e32 v[0:1], s[4:5], v[80:81]
	v_fmac_f64_e32 v[82:83], s[10:11], v[74:75]
	;; [unrolled: 1-line block ×3, first 2 shown]
	v_add_f64 v[74:75], v[46:47], v[32:33]
	v_add_f64 v[74:75], v[74:75], v[34:35]
	;; [unrolled: 1-line block ×7, first 2 shown]
	v_add_f64 v[84:85], v[44:45], -v[42:43]
	v_fma_f64 v[162:163], -0.5, v[74:75], v[46:47]
	v_add_f64 v[42:43], v[42:43], -v[54:55]
	v_add_f64 v[70:71], v[70:71], v[54:55]
	v_add_f64 v[86:87], v[52:53], -v[54:55]
	v_fma_f64 v[164:165], s[14:15], v[42:43], v[162:163]
	v_add_f64 v[44:45], v[44:45], -v[52:53]
	v_add_f64 v[52:53], v[32:33], -v[34:35]
	;; [unrolled: 1-line block ×3, first 2 shown]
	v_fmac_f64_e32 v[162:163], s[4:5], v[42:43]
	v_fmac_f64_e32 v[164:165], s[18:19], v[44:45]
	v_add_f64 v[52:53], v[52:53], v[54:55]
	v_fmac_f64_e32 v[162:163], s[10:11], v[44:45]
	v_fmac_f64_e32 v[164:165], s[12:13], v[52:53]
	;; [unrolled: 1-line block ×3, first 2 shown]
	v_add_f64 v[52:53], v[32:33], v[40:41]
	v_add_f64 v[32:33], v[34:35], -v[32:33]
	v_add_f64 v[34:35], v[38:39], -v[40:41]
	v_fma_f64 v[166:167], -0.5, v[52:53], v[46:47]
	v_add_f64 v[32:33], v[32:33], v[34:35]
	v_add_f64 v[34:35], v[26:27], v[28:29]
	v_fma_f64 v[12:13], v[196:197], v[176:177], -v[12:13]
	v_fma_f64 v[168:169], s[4:5], v[44:45], v[166:167]
	v_fmac_f64_e32 v[166:167], s[14:15], v[44:45]
	v_fma_f64 v[34:35], -0.5, v[34:35], v[2:3]
	v_add_f64 v[38:39], v[8:9], -v[20:21]
	v_fmac_f64_e32 v[168:169], s[18:19], v[42:43]
	v_fmac_f64_e32 v[166:167], s[10:11], v[42:43]
	v_fma_f64 v[40:41], s[4:5], v[38:39], v[34:35]
	v_add_f64 v[42:43], v[12:13], -v[18:19]
	v_add_f64 v[44:45], v[24:25], -v[26:27]
	;; [unrolled: 1-line block ×3, first 2 shown]
	v_fmac_f64_e32 v[34:35], s[14:15], v[38:39]
	v_fmac_f64_e32 v[40:41], s[10:11], v[42:43]
	v_add_f64 v[44:45], v[44:45], v[46:47]
	v_fmac_f64_e32 v[34:35], s[18:19], v[42:43]
	v_fmac_f64_e32 v[40:41], s[12:13], v[44:45]
	;; [unrolled: 1-line block ×3, first 2 shown]
	v_add_f64 v[44:45], v[24:25], v[30:31]
	v_fmac_f64_e32 v[168:169], s[12:13], v[32:33]
	v_fmac_f64_e32 v[166:167], s[12:13], v[32:33]
	v_add_f64 v[32:33], v[2:3], v[24:25]
	v_fmac_f64_e32 v[2:3], -0.5, v[44:45]
	v_fma_f64 v[44:45], s[14:15], v[42:43], v[2:3]
	v_fmac_f64_e32 v[2:3], s[4:5], v[42:43]
	v_fmac_f64_e32 v[44:45], s[10:11], v[38:39]
	;; [unrolled: 1-line block ×3, first 2 shown]
	v_add_f64 v[38:39], v[48:49], v[8:9]
	v_add_f64 v[38:39], v[38:39], v[12:13]
	;; [unrolled: 1-line block ×7, first 2 shown]
	v_add_f64 v[46:47], v[26:27], -v[24:25]
	v_fma_f64 v[172:173], -0.5, v[38:39], v[48:49]
	v_add_f64 v[24:25], v[24:25], -v[30:31]
	v_add_f64 v[32:33], v[32:33], v[30:31]
	v_add_f64 v[52:53], v[28:29], -v[30:31]
	v_fma_f64 v[174:175], s[14:15], v[24:25], v[172:173]
	v_add_f64 v[26:27], v[26:27], -v[28:29]
	v_add_f64 v[28:29], v[8:9], -v[12:13]
	;; [unrolled: 1-line block ×3, first 2 shown]
	v_fmac_f64_e32 v[172:173], s[4:5], v[24:25]
	v_fmac_f64_e32 v[174:175], s[18:19], v[26:27]
	v_add_f64 v[28:29], v[28:29], v[30:31]
	v_fmac_f64_e32 v[172:173], s[10:11], v[26:27]
	v_fmac_f64_e32 v[174:175], s[12:13], v[28:29]
	;; [unrolled: 1-line block ×3, first 2 shown]
	v_add_f64 v[28:29], v[8:9], v[20:21]
	v_fmac_f64_e32 v[48:49], -0.5, v[28:29]
	v_fma_f64 v[176:177], s[4:5], v[26:27], v[48:49]
	v_add_f64 v[8:9], v[12:13], -v[8:9]
	v_add_f64 v[12:13], v[18:19], -v[20:21]
	v_fmac_f64_e32 v[48:49], s[14:15], v[26:27]
	v_fmac_f64_e32 v[176:177], s[18:19], v[24:25]
	v_add_f64 v[8:9], v[8:9], v[12:13]
	v_fmac_f64_e32 v[48:49], s[10:11], v[24:25]
	v_fmac_f64_e32 v[176:177], s[12:13], v[8:9]
	v_fmac_f64_e32 v[48:49], s[12:13], v[8:9]
	v_mov_b32_e32 v8, 0xc08
	v_cmp_lt_u32_e64 s[0:1], 21, v230
	v_accvgpr_read_b32 v9, a14
	v_lshlrev_b32_e32 v9, 3, v9
	v_cndmask_b32_e64 v8, 0, v8, s[0:1]
	s_waitcnt lgkmcnt(0)
	; wave barrier
	ds_write2_b64 v231, v[14:15], v[22:23] offset1:77
	ds_write2_b64 v231, v[36:37], v[130:131] offset0:154 offset1:231
	ds_write_b64 v231, v[16:17] offset:2464
	v_add3_u32 v8, 0, v8, v9
	v_accvgpr_read_b32 v9, a16
	v_mov_b32_e32 v12, 3
	v_accvgpr_read_b32 v13, a17
	v_accvgpr_read_b32 v14, a28
	;; [unrolled: 1-line block ×3, first 2 shown]
	v_mul_u32_u24_e32 v9, 0xc08, v9
	v_lshlrev_b32_sdwa v12, v12, v13 dst_sel:DWORD dst_unused:UNUSED_PAD src0_sel:DWORD src1_sel:BYTE_0
	v_mul_u32_u24_e32 v14, 0xc08, v14
	v_lshlrev_b32_e32 v15, 3, v15
	v_add3_u32 v9, 0, v9, v12
	v_accvgpr_read_b32 v12, a22
	v_add3_u32 v14, 0, v14, v15
	v_accvgpr_read_b32 v15, a23
	v_accvgpr_read_b32 v16, a30
	v_add_f64 v[84:85], v[84:85], v[86:87]
	v_lshl_add_u32 v12, v12, 3, 0
	v_mul_u32_u24_e32 v15, 0xc08, v15
	v_lshlrev_b32_e32 v16, 3, v16
	v_fmac_f64_e32 v[0:1], s[12:13], v[84:85]
	v_add_u32_e32 v13, 0x1800, v12
	v_add3_u32 v15, 0, v15, v16
	v_fmac_f64_e32 v[82:83], s[12:13], v[84:85]
	ds_write2_b64 v8, v[64:65], v[68:69] offset1:77
	ds_write2_b64 v8, v[78:79], v[132:133] offset0:154 offset1:231
	ds_write_b64 v8, v[66:67] offset:2464
	ds_write2_b64 v9, v[98:99], v[106:107] offset1:77
	ds_write2_b64 v9, v[112:113], v[126:127] offset0:154 offset1:231
	ds_write_b64 v9, v[100:101] offset:2464
	ds_write2_b64 v13, v[138:139], v[144:145] offset0:2 offset1:79
	ds_write2_b64 v13, v[146:147], v[128:129] offset0:156 offset1:233
	ds_write_b64 v12, v[142:143] offset:8624
	ds_write2_b64 v14, v[88:89], v[104:105] offset1:77
	ds_write2_b64 v14, v[134:135], v[124:125] offset0:154 offset1:231
	ds_write_b64 v14, v[102:103] offset:2464
	ds_write2_b64 v15, v[70:71], v[76:77] offset1:77
	ds_write2_b64 v15, v[82:83], v[0:1] offset0:154 offset1:231
	ds_write_b64 v15, v[72:73] offset:2464
	v_accvgpr_read_b32 v0, a31
	v_add_f64 v[46:47], v[46:47], v[52:53]
	v_lshl_add_u32 v0, v0, 3, 0
	v_fmac_f64_e32 v[2:3], s[12:13], v[46:47]
	v_add_u32_e32 v1, 0x3000, v0
	v_fmac_f64_e32 v[44:45], s[12:13], v[46:47]
	ds_write2_b64 v1, v[32:33], v[40:41] offset0:4 offset1:81
	ds_write2_b64 v1, v[44:45], v[2:3] offset0:158 offset1:235
	ds_write_b64 v0, v[34:35] offset:14784
	v_accvgpr_read_b32 v2, a15
	s_waitcnt lgkmcnt(0)
	; wave barrier
	s_waitcnt lgkmcnt(0)
	ds_read2_b64 v[20:23], v2 offset0:129 offset1:184
	v_accvgpr_read_b32 v2, a21
	v_accvgpr_read_b32 v3, a20
	;; [unrolled: 1-line block ×3, first 2 shown]
	ds_read_b64 v[138:139], v231
	ds_read2_b64 v[32:35], v2 offset0:75 offset1:130
	ds_read2_b64 v[28:31], v224 offset0:131 offset1:186
	;; [unrolled: 1-line block ×4, first 2 shown]
	v_accvgpr_read_b32 v3, a18
	ds_read2_b64 v[70:73], v16 offset0:111 offset1:166
	v_accvgpr_read_b32 v16, a34
	v_accvgpr_read_b32 v189, a7
	;; [unrolled: 1-line block ×5, first 2 shown]
	ds_read2_b64 v[44:47], v3 offset0:59 offset1:114
	ds_read2_b64 v[74:77], v16 offset0:113 offset1:168
	ds_read_b64 v[146:147], v186
	ds_read2_b64 v[82:85], v184 offset0:167 offset1:222
	ds_read2_b64 v[78:81], v3 offset0:169 offset1:224
	ds_read_b64 v[144:145], v188
	ds_read_b64 v[142:143], v187
	;; [unrolled: 1-line block ×3, first 2 shown]
	v_accvgpr_read_b32 v3, a32
	ds_read2_b64 v[86:89], v3 offset0:93 offset1:148
	v_accvgpr_read_b32 v3, a33
	ds_read2_b64 v[106:109], v3 offset0:95 offset1:150
	ds_read2_b64 v[102:105], v222 offset0:19 offset1:74
	;; [unrolled: 1-line block ×4, first 2 shown]
	s_waitcnt lgkmcnt(0)
	; wave barrier
	s_waitcnt lgkmcnt(0)
	ds_write2_b64 v231, v[4:5], v[10:11] offset1:77
	ds_write2_b64 v231, v[50:51], v[156:157] offset0:154 offset1:231
	ds_write_b64 v231, v[6:7] offset:2464
	ds_write2_b64 v8, v[56:57], v[60:61] offset1:77
	ds_write2_b64 v8, v[62:63], v[150:151] offset0:154 offset1:231
	ds_write_b64 v8, v[58:59] offset:2464
	;; [unrolled: 3-line block ×3, first 2 shown]
	ds_write2_b64 v13, v[114:115], v[118:119] offset0:2 offset1:79
	ds_write2_b64 v13, v[116:117], v[152:153] offset0:156 offset1:233
	ds_write_b64 v12, v[122:123] offset:8624
	ds_write2_b64 v14, v[96:97], v[158:159] offset1:77
	ds_write2_b64 v14, v[136:137], v[154:155] offset0:154 offset1:231
	ds_write_b64 v14, v[120:121] offset:2464
	ds_write2_b64 v15, v[160:161], v[164:165] offset1:77
	ds_write2_b64 v15, v[168:169], v[166:167] offset0:154 offset1:231
	ds_write_b64 v15, v[162:163] offset:2464
	ds_write2_b64 v1, v[170:171], v[174:175] offset0:4 offset1:81
	ds_write2_b64 v1, v[176:177], v[48:49] offset0:158 offset1:235
	ds_write_b64 v0, v[172:173] offset:14784
	s_waitcnt lgkmcnt(0)
	; wave barrier
	s_waitcnt lgkmcnt(0)
	s_and_saveexec_b64 s[0:1], vcc
	s_cbranch_execz .LBB0_23
; %bb.22:
	v_accvgpr_read_b32 v0, a13
	v_lshlrev_b32_e32 v184, 2, v0
	v_lshl_add_u64 v[8:9], v[184:185], 4, s[8:9]
	s_mov_b64 s[0:1], 0x17a0
	v_add_co_u32_e32 v18, vcc, 0x1000, v8
	v_lshl_add_u64 v[16:17], v[8:9], 0, s[0:1]
	s_nop 0
	v_addc_co_u32_e32 v19, vcc, 0, v9, vcc
	global_load_dwordx4 v[0:3], v[16:17], off offset:32
	global_load_dwordx4 v[4:7], v[16:17], off offset:16
	;; [unrolled: 1-line block ×4, first 2 shown]
	v_mul_lo_u32 v16, s3, v220
	v_mul_lo_u32 v17, s2, v221
	v_mad_u64_u32 v[140:141], s[2:3], s2, v220, 0
	v_add3_u32 v141, v141, v17, v16
	v_accvgpr_read_b32 v16, a9
	v_lshlrev_b32_e32 v184, 2, v16
	s_movk_i32 s2, 0x1000
	v_add_u32_e32 v156, 0x2000, v231
	v_add_u32_e32 v18, 0x1400, v231
	;; [unrolled: 1-line block ×4, first 2 shown]
	v_accvgpr_read_b32 v49, a10
	v_lshl_add_u64 v[16:17], v[184:185], 4, s[8:9]
	v_add_u32_e32 v60, 0x800, v49
	ds_read2_b64 v[56:59], v156 offset0:21 offset1:76
	ds_read2_b64 v[66:69], v18 offset0:75 offset1:130
	;; [unrolled: 1-line block ×4, first 2 shown]
	v_lshl_add_u64 v[18:19], v[16:17], 0, s[0:1]
	v_add_co_u32_e32 v16, vcc, s2, v16
	global_load_dwordx4 v[114:117], v[18:19], off offset:32
	global_load_dwordx4 v[130:133], v[18:19], off offset:16
	v_addc_co_u32_e32 v17, vcc, 0, v17, vcc
	ds_read2_b64 v[110:113], v60 offset0:19 offset1:74
	global_load_dwordx4 v[122:125], v[16:17], off offset:1952
	global_load_dwordx4 v[118:121], v[18:19], off offset:48
	v_add_u32_e32 v157, 0x1800, v231
	v_add_u32_e32 v158, 0x3000, v231
	s_waitcnt vmcnt(7)
	v_mul_f64 v[18:19], v[24:25], v[2:3]
	s_waitcnt vmcnt(6)
	v_mul_f64 v[16:17], v[42:43], v[6:7]
	s_waitcnt lgkmcnt(4)
	v_mul_f64 v[60:61], v[58:59], v[6:7]
	s_waitcnt lgkmcnt(2)
	v_mul_f64 v[90:91], v[62:63], v[2:3]
	s_waitcnt vmcnt(5)
	v_mul_f64 v[2:3], v[32:33], v[10:11]
	s_waitcnt vmcnt(4)
	v_mul_f64 v[6:7], v[38:39], v[14:15]
	v_fma_f64 v[16:17], v[4:5], v[58:59], -v[16:17]
	v_fma_f64 v[58:59], v[0:1], v[62:63], -v[18:19]
	v_fmac_f64_e32 v[60:61], v[42:43], v[4:5]
	v_fmac_f64_e32 v[90:91], v[24:25], v[0:1]
	v_mul_f64 v[24:25], v[66:67], v[10:11]
	s_waitcnt lgkmcnt(1)
	v_mul_f64 v[42:43], v[50:51], v[14:15]
	v_fma_f64 v[0:1], v[8:9], v[66:67], -v[2:3]
	v_fma_f64 v[4:5], v[12:13], v[50:51], -v[6:7]
	v_fmac_f64_e32 v[24:25], v[32:33], v[8:9]
	v_fmac_f64_e32 v[42:43], v[38:39], v[12:13]
	v_add_f64 v[2:3], v[16:17], v[58:59]
	v_add_f64 v[10:11], v[0:1], v[4:5]
	v_add_f64 v[32:33], v[0:1], -v[16:17]
	v_add_f64 v[38:39], v[4:5], -v[58:59]
	s_waitcnt lgkmcnt(0)
	v_add_f64 v[50:51], v[0:1], v[112:113]
	v_add_f64 v[18:19], v[60:61], -v[90:91]
	v_add_f64 v[6:7], v[16:17], -v[0:1]
	;; [unrolled: 1-line block ×4, first 2 shown]
	v_fma_f64 v[14:15], -0.5, v[2:3], v[112:113]
	v_add_f64 v[92:93], v[0:1], -v[4:5]
	v_add_f64 v[0:1], v[24:25], v[42:43]
	v_fma_f64 v[10:11], -0.5, v[10:11], v[112:113]
	v_add_f64 v[32:33], v[32:33], v[38:39]
	v_add_f64 v[38:39], v[16:17], v[50:51]
	;; [unrolled: 1-line block ×3, first 2 shown]
	v_fma_f64 v[2:3], s[4:5], v[12:13], v[14:15]
	v_fmac_f64_e32 v[14:15], s[14:15], v[12:13]
	v_fma_f64 v[8:9], -0.5, v[0:1], v[104:105]
	v_fma_f64 v[6:7], s[14:15], v[18:19], v[10:11]
	v_fmac_f64_e32 v[10:11], s[4:5], v[18:19]
	v_add_f64 v[0:1], v[58:59], v[38:39]
	v_fmac_f64_e32 v[2:3], s[10:11], v[18:19]
	v_fmac_f64_e32 v[14:15], s[18:19], v[18:19]
	;; [unrolled: 1-line block ×4, first 2 shown]
	v_add_f64 v[18:19], v[4:5], v[0:1]
	v_add_f64 v[0:1], v[24:25], -v[60:61]
	v_add_f64 v[12:13], v[42:43], -v[90:91]
	v_fmac_f64_e32 v[2:3], s[12:13], v[32:33]
	v_fmac_f64_e32 v[14:15], s[12:13], v[32:33]
	v_add_f64 v[32:33], v[0:1], v[12:13]
	v_add_f64 v[0:1], v[60:61], v[90:91]
	v_fma_f64 v[12:13], -0.5, v[0:1], v[104:105]
	v_add_f64 v[16:17], v[16:17], -v[58:59]
	v_fma_f64 v[0:1], s[14:15], v[92:93], v[12:13]
	v_fmac_f64_e32 v[12:13], s[4:5], v[92:93]
	v_fmac_f64_e32 v[0:1], s[18:19], v[16:17]
	;; [unrolled: 1-line block ×5, first 2 shown]
	v_accvgpr_read_b32 v32, a12
	v_lshlrev_b32_e32 v184, 2, v32
	v_lshl_add_u64 v[32:33], v[184:185], 4, s[8:9]
	v_fma_f64 v[4:5], s[4:5], v[16:17], v[8:9]
	v_fmac_f64_e32 v[8:9], s[14:15], v[16:17]
	v_add_f64 v[16:17], v[104:105], v[24:25]
	v_lshl_add_u64 v[38:39], v[32:33], 0, s[0:1]
	v_add_co_u32_e32 v32, vcc, s2, v32
	v_add_f64 v[16:17], v[60:61], v[16:17]
	s_nop 0
	v_addc_co_u32_e32 v33, vcc, 0, v33, vcc
	v_add_f64 v[66:67], v[90:91], -v[42:43]
	v_fmac_f64_e32 v[4:5], s[18:19], v[92:93]
	v_fmac_f64_e32 v[8:9], s[10:11], v[92:93]
	v_add_f64 v[16:17], v[16:17], v[90:91]
	global_load_dwordx4 v[126:129], v[38:39], off offset:32
	global_load_dwordx4 v[134:137], v[38:39], off offset:16
	;; [unrolled: 1-line block ×4, first 2 shown]
	v_add_u32_e32 v32, 0x2800, v231
	v_add_f64 v[16:17], v[16:17], v[42:43]
	v_add_u32_e32 v42, 0x1000, v231
	ds_read2_b64 v[152:155], v32 offset0:95 offset1:150
	v_fmac_f64_e32 v[6:7], s[12:13], v[94:95]
	v_fmac_f64_e32 v[10:11], s[12:13], v[94:95]
	ds_read2_b64 v[94:97], v42 offset0:93 offset1:148
	v_add_f64 v[62:63], v[60:61], -v[24:25]
	v_add_f64 v[50:51], v[62:63], v[66:67]
	v_fmac_f64_e32 v[4:5], s[12:13], v[50:51]
	v_fmac_f64_e32 v[8:9], s[12:13], v[50:51]
	s_waitcnt vmcnt(7)
	v_mul_f64 v[50:51], v[108:109], v[116:117]
	s_waitcnt vmcnt(6)
	v_mul_f64 v[24:25], v[40:41], v[132:133]
	;; [unrolled: 2-line block ×3, first 2 shown]
	s_waitcnt lgkmcnt(1)
	v_fma_f64 v[60:61], v[114:115], v[154:155], -v[50:51]
	s_waitcnt vmcnt(4)
	v_mul_f64 v[50:51], v[36:37], v[120:121]
	v_fma_f64 v[24:25], v[130:131], v[56:57], -v[24:25]
	s_waitcnt lgkmcnt(0)
	v_fma_f64 v[32:33], v[122:123], v[96:97], -v[32:33]
	v_fma_f64 v[66:67], v[118:119], v[48:49], -v[50:51]
	v_add_f64 v[42:43], v[24:25], -v[32:33]
	v_add_f64 v[38:39], v[60:61], -v[66:67]
	v_mul_f64 v[112:113], v[56:57], v[132:133]
	v_mul_f64 v[116:117], v[154:155], v[116:117]
	;; [unrolled: 1-line block ×3, first 2 shown]
	v_add_f64 v[42:43], v[42:43], v[38:39]
	v_fmac_f64_e32 v[112:113], v[40:41], v[130:131]
	v_fmac_f64_e32 v[116:117], v[108:109], v[114:115]
	v_add_f64 v[38:39], v[32:33], v[66:67]
	v_fmac_f64_e32 v[96:97], v[88:89], v[122:123]
	v_mul_f64 v[88:89], v[48:49], v[120:121]
	v_add_f64 v[40:41], v[112:113], -v[116:117]
	v_fma_f64 v[50:51], -0.5, v[38:39], v[110:111]
	v_fmac_f64_e32 v[88:89], v[36:37], v[118:119]
	v_fma_f64 v[38:39], s[14:15], v[40:41], v[50:51]
	v_add_f64 v[36:37], v[96:97], -v[88:89]
	v_fmac_f64_e32 v[50:51], s[4:5], v[40:41]
	v_fmac_f64_e32 v[38:39], s[10:11], v[36:37]
	;; [unrolled: 1-line block ×5, first 2 shown]
	v_add_f64 v[42:43], v[32:33], -v[24:25]
	v_add_f64 v[48:49], v[66:67], -v[60:61]
	v_add_f64 v[48:49], v[42:43], v[48:49]
	v_add_f64 v[42:43], v[24:25], v[60:61]
	v_fma_f64 v[58:59], -0.5, v[42:43], v[110:111]
	v_fma_f64 v[42:43], s[4:5], v[36:37], v[58:59]
	v_fmac_f64_e32 v[58:59], s[14:15], v[36:37]
	v_add_f64 v[36:37], v[32:33], v[110:111]
	v_add_f64 v[36:37], v[24:25], v[36:37]
	;; [unrolled: 1-line block ×3, first 2 shown]
	v_fmac_f64_e32 v[42:43], s[10:11], v[40:41]
	v_fmac_f64_e32 v[58:59], s[18:19], v[40:41]
	v_add_f64 v[62:63], v[66:67], v[36:37]
	v_add_f64 v[36:37], v[112:113], -v[96:97]
	v_add_f64 v[40:41], v[116:117], -v[88:89]
	v_add_f64 v[40:41], v[36:37], v[40:41]
	v_add_f64 v[36:37], v[96:97], v[88:89]
	v_fmac_f64_e32 v[42:43], s[12:13], v[48:49]
	v_fmac_f64_e32 v[58:59], s[12:13], v[48:49]
	v_fma_f64 v[48:49], -0.5, v[36:37], v[102:103]
	v_add_f64 v[24:25], v[24:25], -v[60:61]
	v_add_f64 v[32:33], v[32:33], -v[66:67]
	v_fma_f64 v[36:37], s[4:5], v[24:25], v[48:49]
	v_fmac_f64_e32 v[48:49], s[14:15], v[24:25]
	v_fmac_f64_e32 v[36:37], s[18:19], v[32:33]
	;; [unrolled: 1-line block ×5, first 2 shown]
	v_add_f64 v[40:41], v[96:97], -v[112:113]
	v_add_f64 v[56:57], v[88:89], -v[116:117]
	v_add_f64 v[60:61], v[40:41], v[56:57]
	v_add_f64 v[40:41], v[112:113], v[116:117]
	v_fma_f64 v[56:57], -0.5, v[40:41], v[102:103]
	v_fma_f64 v[40:41], s[14:15], v[32:33], v[56:57]
	v_fmac_f64_e32 v[56:57], s[4:5], v[32:33]
	v_fmac_f64_e32 v[40:41], s[18:19], v[24:25]
	;; [unrolled: 1-line block ×3, first 2 shown]
	v_add_f64 v[24:25], v[102:103], v[96:97]
	v_add_f64 v[24:25], v[112:113], v[24:25]
	v_accvgpr_read_b32 v66, a8
	v_add_f64 v[24:25], v[24:25], v[116:117]
	v_lshlrev_b32_e32 v184, 2, v66
	v_fmac_f64_e32 v[40:41], s[12:13], v[60:61]
	v_fmac_f64_e32 v[56:57], s[12:13], v[60:61]
	v_add_f64 v[60:61], v[24:25], v[88:89]
	v_lshl_add_u64 v[88:89], v[184:185], 4, s[8:9]
	v_lshl_add_u64 v[96:97], v[88:89], 0, s[0:1]
	ds_read2_b64 v[102:105], v157 offset0:167 offset1:222
	global_load_dwordx4 v[112:115], v[96:97], off offset:32
	global_load_dwordx4 v[116:119], v[96:97], off offset:16
	ds_read2_b64 v[108:111], v158 offset0:169 offset1:224
	s_waitcnt vmcnt(5)
	v_mul_f64 v[120:121], v[106:107], v[128:129]
	s_waitcnt vmcnt(4)
	v_mul_f64 v[24:25], v[84:85], v[136:137]
	s_waitcnt vmcnt(3)
	v_mul_f64 v[32:33], v[86:87], v[92:93]
	v_fma_f64 v[130:131], v[126:127], v[152:153], -v[120:121]
	s_waitcnt vmcnt(2)
	v_mul_f64 v[120:121], v[80:81], v[100:101]
	s_waitcnt lgkmcnt(1)
	v_fma_f64 v[24:25], v[134:135], v[104:105], -v[24:25]
	v_fma_f64 v[32:33], v[90:91], v[94:95], -v[32:33]
	s_waitcnt lgkmcnt(0)
	v_fma_f64 v[132:133], v[98:99], v[110:111], -v[120:121]
	v_add_f64 v[66:67], v[24:25], -v[32:33]
	v_add_f64 v[120:121], v[130:131], -v[132:133]
	v_add_f64 v[150:151], v[66:67], v[120:121]
	v_mul_f64 v[66:67], v[104:105], v[136:137]
	v_add_co_u32_e32 v88, vcc, s2, v88
	v_fmac_f64_e32 v[66:67], v[84:85], v[134:135]
	v_mul_f64 v[84:85], v[152:153], v[128:129]
	v_addc_co_u32_e32 v89, vcc, 0, v89, vcc
	global_load_dwordx4 v[120:123], v[88:89], off offset:1952
	v_fmac_f64_e32 v[84:85], v[106:107], v[126:127]
	global_load_dwordx4 v[124:127], v[96:97], off offset:48
	ds_read_b64 v[104:105], v189
	v_mul_f64 v[134:135], v[94:95], v[92:93]
	v_add_f64 v[88:89], v[32:33], v[132:133]
	v_fmac_f64_e32 v[134:135], v[86:87], v[90:91]
	v_mul_f64 v[110:111], v[110:111], v[100:101]
	v_add_f64 v[86:87], v[32:33], -v[24:25]
	v_add_f64 v[90:91], v[132:133], -v[130:131]
	;; [unrolled: 1-line block ×3, first 2 shown]
	s_waitcnt lgkmcnt(0)
	v_fma_f64 v[96:97], -0.5, v[88:89], v[104:105]
	v_fmac_f64_e32 v[110:111], v[80:81], v[98:99]
	v_add_f64 v[86:87], v[86:87], v[90:91]
	v_add_f64 v[90:91], v[24:25], v[130:131]
	v_fma_f64 v[88:89], s[14:15], v[106:107], v[96:97]
	v_add_f64 v[80:81], v[134:135], -v[110:111]
	v_fmac_f64_e32 v[96:97], s[4:5], v[106:107]
	v_fma_f64 v[100:101], -0.5, v[90:91], v[104:105]
	v_fmac_f64_e32 v[88:89], s[10:11], v[80:81]
	v_fmac_f64_e32 v[96:97], s[18:19], v[80:81]
	v_fma_f64 v[92:93], s[4:5], v[80:81], v[100:101]
	v_fmac_f64_e32 v[100:101], s[14:15], v[80:81]
	v_add_f64 v[80:81], v[32:33], v[104:105]
	v_add_f64 v[80:81], v[24:25], v[80:81]
	v_fmac_f64_e32 v[92:93], s[10:11], v[106:107]
	v_fmac_f64_e32 v[100:101], s[18:19], v[106:107]
	v_add_f64 v[80:81], v[130:131], v[80:81]
	v_fmac_f64_e32 v[92:93], s[12:13], v[86:87]
	v_fmac_f64_e32 v[100:101], s[12:13], v[86:87]
	v_add_f64 v[106:107], v[132:133], v[80:81]
	v_add_f64 v[80:81], v[66:67], -v[134:135]
	v_add_f64 v[86:87], v[84:85], -v[110:111]
	v_add_f64 v[80:81], v[80:81], v[86:87]
	v_add_f64 v[86:87], v[134:135], v[110:111]
	v_fma_f64 v[94:95], -0.5, v[86:87], v[148:149]
	v_add_f64 v[24:25], v[24:25], -v[130:131]
	v_add_f64 v[32:33], v[32:33], -v[132:133]
	v_fma_f64 v[86:87], s[4:5], v[24:25], v[94:95]
	v_fmac_f64_e32 v[94:95], s[14:15], v[24:25]
	v_fmac_f64_e32 v[86:87], s[18:19], v[32:33]
	;; [unrolled: 1-line block ×5, first 2 shown]
	v_add_f64 v[80:81], v[134:135], -v[66:67]
	v_add_f64 v[90:91], v[110:111], -v[84:85]
	v_add_f64 v[80:81], v[80:81], v[90:91]
	v_add_f64 v[90:91], v[66:67], v[84:85]
	v_fma_f64 v[98:99], -0.5, v[90:91], v[148:149]
	v_fma_f64 v[90:91], s[14:15], v[32:33], v[98:99]
	v_fmac_f64_e32 v[98:99], s[4:5], v[32:33]
	v_accvgpr_read_b32 v32, a6
	v_lshlrev_b32_e32 v184, 2, v32
	v_fmac_f64_e32 v[90:91], s[18:19], v[24:25]
	v_fmac_f64_e32 v[98:99], s[10:11], v[24:25]
	v_add_f64 v[24:25], v[148:149], v[134:135]
	v_lshl_add_u64 v[32:33], v[184:185], 4, s[8:9]
	v_add_f64 v[24:25], v[66:67], v[24:25]
	v_lshl_add_u64 v[66:67], v[32:33], 0, s[0:1]
	ds_read_b64 v[128:129], v188
	ds_read_b64 v[152:153], v187
	;; [unrolled: 1-line block ×3, first 2 shown]
	global_load_dwordx4 v[130:133], v[66:67], off offset:32
	global_load_dwordx4 v[134:137], v[66:67], off offset:16
	v_add_co_u32_e32 v32, vcc, s2, v32
	v_fmac_f64_e32 v[88:89], s[12:13], v[150:151]
	s_nop 0
	v_addc_co_u32_e32 v33, vcc, 0, v33, vcc
	v_fmac_f64_e32 v[96:97], s[12:13], v[150:151]
	global_load_dwordx4 v[148:151], v[32:33], off offset:1952
	global_load_dwordx4 v[168:171], v[66:67], off offset:48
	v_add_u32_e32 v32, 0x2400, v231
	v_fmac_f64_e32 v[90:91], s[12:13], v[80:81]
	v_fmac_f64_e32 v[98:99], s[12:13], v[80:81]
	v_add_u32_e32 v80, 0xc00, v231
	ds_read2_b64 v[164:167], v32 offset0:113 offset1:168
	v_add_f64 v[24:25], v[24:25], v[84:85]
	ds_read2_b64 v[160:163], v80 offset0:111 offset1:166
	v_add_f64 v[104:105], v[24:25], v[110:111]
	s_waitcnt vmcnt(6)
	v_mul_f64 v[24:25], v[82:83], v[118:119]
	v_fma_f64 v[24:25], v[116:117], v[102:103], -v[24:25]
	v_mul_f64 v[102:103], v[102:103], v[118:119]
	v_mul_f64 v[84:85], v[76:77], v[114:115]
	v_fmac_f64_e32 v[102:103], v[82:83], v[116:117]
	ds_read_b64 v[82:83], v186
	s_waitcnt vmcnt(5)
	v_mul_f64 v[32:33], v[72:73], v[122:123]
	s_waitcnt lgkmcnt(2)
	v_fma_f64 v[172:173], v[112:113], v[166:167], -v[84:85]
	s_waitcnt vmcnt(4)
	v_mul_f64 v[84:85], v[78:79], v[126:127]
	s_waitcnt lgkmcnt(1)
	v_fma_f64 v[32:33], v[120:121], v[162:163], -v[32:33]
	v_fma_f64 v[66:67], v[124:125], v[108:109], -v[84:85]
	v_add_f64 v[80:81], v[24:25], -v[32:33]
	v_add_f64 v[84:85], v[172:173], -v[66:67]
	v_mul_f64 v[116:117], v[166:167], v[114:115]
	v_mul_f64 v[122:123], v[162:163], v[122:123]
	v_add_f64 v[84:85], v[80:81], v[84:85]
	v_fmac_f64_e32 v[116:117], v[76:77], v[112:113]
	v_add_f64 v[80:81], v[32:33], v[66:67]
	v_fmac_f64_e32 v[122:123], v[72:73], v[120:121]
	v_mul_f64 v[72:73], v[108:109], v[126:127]
	v_add_f64 v[76:77], v[102:103], -v[116:117]
	s_waitcnt lgkmcnt(0)
	v_fma_f64 v[110:111], -0.5, v[80:81], v[82:83]
	v_fmac_f64_e32 v[72:73], v[78:79], v[124:125]
	v_fma_f64 v[80:81], s[14:15], v[76:77], v[110:111]
	v_add_f64 v[78:79], v[122:123], -v[72:73]
	v_fmac_f64_e32 v[110:111], s[4:5], v[76:77]
	v_fmac_f64_e32 v[80:81], s[10:11], v[78:79]
	;; [unrolled: 1-line block ×5, first 2 shown]
	v_add_f64 v[84:85], v[32:33], -v[24:25]
	v_add_f64 v[108:109], v[66:67], -v[172:173]
	v_add_f64 v[108:109], v[84:85], v[108:109]
	v_add_f64 v[84:85], v[24:25], v[172:173]
	v_fma_f64 v[114:115], -0.5, v[84:85], v[82:83]
	v_fma_f64 v[84:85], s[4:5], v[78:79], v[114:115]
	v_fmac_f64_e32 v[114:115], s[14:15], v[78:79]
	v_fmac_f64_e32 v[84:85], s[10:11], v[76:77]
	;; [unrolled: 1-line block ×3, first 2 shown]
	v_add_f64 v[76:77], v[32:33], v[82:83]
	v_add_f64 v[76:77], v[24:25], v[76:77]
	;; [unrolled: 1-line block ×4, first 2 shown]
	v_add_f64 v[32:33], v[32:33], -v[66:67]
	v_add_f64 v[66:67], v[122:123], v[72:73]
	v_fmac_f64_e32 v[84:85], s[12:13], v[108:109]
	v_fmac_f64_e32 v[114:115], s[12:13], v[108:109]
	v_add_f64 v[76:77], v[102:103], -v[122:123]
	v_add_f64 v[78:79], v[116:117], -v[72:73]
	v_fma_f64 v[108:109], -0.5, v[66:67], v[146:147]
	v_add_f64 v[24:25], v[24:25], -v[172:173]
	v_add_f64 v[76:77], v[76:77], v[78:79]
	v_fma_f64 v[78:79], s[4:5], v[24:25], v[108:109]
	v_fmac_f64_e32 v[108:109], s[14:15], v[24:25]
	v_fmac_f64_e32 v[78:79], s[18:19], v[32:33]
	;; [unrolled: 1-line block ×5, first 2 shown]
	v_add_f64 v[66:67], v[122:123], -v[102:103]
	v_add_f64 v[76:77], v[72:73], -v[116:117]
	v_add_f64 v[66:67], v[66:67], v[76:77]
	v_add_f64 v[76:77], v[102:103], v[116:117]
	v_fma_f64 v[112:113], -0.5, v[76:77], v[146:147]
	v_fma_f64 v[82:83], s[14:15], v[32:33], v[112:113]
	v_fmac_f64_e32 v[112:113], s[4:5], v[32:33]
	v_fmac_f64_e32 v[82:83], s[18:19], v[24:25]
	;; [unrolled: 1-line block ×3, first 2 shown]
	v_add_f64 v[24:25], v[146:147], v[122:123]
	v_add_f64 v[24:25], v[102:103], v[24:25]
	;; [unrolled: 1-line block ×4, first 2 shown]
	s_waitcnt vmcnt(3)
	v_mul_f64 v[72:73], v[74:75], v[132:133]
	ds_read2_b64 v[172:175], v157 offset0:57 offset1:112
	v_fma_f64 v[102:103], v[130:131], v[164:165], -v[72:73]
	ds_read2_b64 v[176:179], v158 offset0:59 offset1:114
	v_accvgpr_read_b32 v72, a2
	v_lshlrev_b32_e32 v184, 2, v72
	v_lshl_add_u64 v[72:73], v[184:185], 4, s[8:9]
	v_lshl_add_u64 v[76:77], v[72:73], 0, s[0:1]
	v_add_co_u32_e32 v72, vcc, s2, v72
	s_waitcnt vmcnt(2)
	v_mul_f64 v[24:25], v[54:55], v[136:137]
	s_waitcnt vmcnt(1)
	v_mul_f64 v[32:33], v[70:71], v[150:151]
	global_load_dwordx4 v[180:183], v[76:77], off offset:32
	global_load_dwordx4 v[184:187], v[76:77], off offset:16
	s_waitcnt vmcnt(2)
	v_mul_f64 v[120:121], v[46:47], v[170:171]
	v_addc_co_u32_e32 v73, vcc, 0, v73, vcc
	s_waitcnt lgkmcnt(1)
	v_fma_f64 v[24:25], v[134:135], v[174:175], -v[24:25]
	v_fma_f64 v[32:33], v[148:149], v[160:161], -v[32:33]
	global_load_dwordx4 v[188:191], v[72:73], off offset:1952
	global_load_dwordx4 v[192:195], v[76:77], off offset:48
	s_waitcnt lgkmcnt(0)
	v_fma_f64 v[120:121], v[168:169], v[178:179], -v[120:121]
	v_mul_f64 v[136:137], v[174:175], v[136:137]
	v_fmac_f64_e32 v[82:83], s[12:13], v[66:67]
	v_fmac_f64_e32 v[112:113], s[12:13], v[66:67]
	v_add_f64 v[66:67], v[24:25], -v[32:33]
	v_add_f64 v[72:73], v[102:103], -v[120:121]
	v_fmac_f64_e32 v[136:137], v[54:55], v[134:135]
	v_mul_f64 v[54:55], v[164:165], v[132:133]
	v_add_f64 v[66:67], v[66:67], v[72:73]
	v_fmac_f64_e32 v[54:55], v[74:75], v[130:131]
	v_add_f64 v[72:73], v[32:33], v[120:121]
	v_mul_f64 v[132:133], v[160:161], v[150:151]
	v_mul_f64 v[158:159], v[178:179], v[170:171]
	v_add_f64 v[74:75], v[136:137], -v[54:55]
	v_fma_f64 v[122:123], -0.5, v[72:73], v[128:129]
	v_fmac_f64_e32 v[132:133], v[70:71], v[148:149]
	v_fmac_f64_e32 v[158:159], v[46:47], v[168:169]
	v_fma_f64 v[72:73], s[14:15], v[74:75], v[122:123]
	v_add_f64 v[46:47], v[132:133], -v[158:159]
	v_fmac_f64_e32 v[122:123], s[4:5], v[74:75]
	v_fmac_f64_e32 v[72:73], s[10:11], v[46:47]
	;; [unrolled: 1-line block ×5, first 2 shown]
	v_add_f64 v[66:67], v[32:33], -v[24:25]
	v_add_f64 v[70:71], v[120:121], -v[102:103]
	v_add_f64 v[66:67], v[66:67], v[70:71]
	v_add_f64 v[70:71], v[24:25], v[102:103]
	v_fma_f64 v[126:127], -0.5, v[70:71], v[128:129]
	v_fma_f64 v[76:77], s[4:5], v[46:47], v[126:127]
	v_fmac_f64_e32 v[126:127], s[14:15], v[46:47]
	v_add_f64 v[46:47], v[32:33], v[128:129]
	v_add_f64 v[46:47], v[24:25], v[46:47]
	v_fmac_f64_e32 v[76:77], s[10:11], v[74:75]
	v_fmac_f64_e32 v[126:127], s[18:19], v[74:75]
	v_add_f64 v[46:47], v[102:103], v[46:47]
	v_fmac_f64_e32 v[76:77], s[12:13], v[66:67]
	v_fmac_f64_e32 v[126:127], s[12:13], v[66:67]
	v_add_f64 v[130:131], v[120:121], v[46:47]
	v_add_f64 v[46:47], v[136:137], -v[132:133]
	v_add_f64 v[66:67], v[54:55], -v[158:159]
	v_add_f64 v[46:47], v[46:47], v[66:67]
	v_add_f64 v[66:67], v[132:133], v[158:159]
	v_add_f64 v[32:33], v[32:33], -v[120:121]
	v_fma_f64 v[120:121], -0.5, v[66:67], v[144:145]
	v_add_f64 v[24:25], v[24:25], -v[102:103]
	v_fma_f64 v[70:71], s[4:5], v[24:25], v[120:121]
	v_fmac_f64_e32 v[120:121], s[14:15], v[24:25]
	v_fmac_f64_e32 v[70:71], s[18:19], v[32:33]
	;; [unrolled: 1-line block ×5, first 2 shown]
	v_add_f64 v[46:47], v[132:133], -v[136:137]
	v_add_f64 v[66:67], v[158:159], -v[54:55]
	v_add_f64 v[46:47], v[46:47], v[66:67]
	v_add_f64 v[66:67], v[136:137], v[54:55]
	v_fma_f64 v[124:125], -0.5, v[66:67], v[144:145]
	v_fma_f64 v[74:75], s[14:15], v[32:33], v[124:125]
	v_fmac_f64_e32 v[124:125], s[4:5], v[32:33]
	v_fmac_f64_e32 v[74:75], s[18:19], v[24:25]
	;; [unrolled: 1-line block ×5, first 2 shown]
	v_accvgpr_read_b32 v47, a1
	v_accvgpr_read_b32 v46, a0
	v_lshl_add_u64 v[32:33], v[46:47], 0, s[0:1]
	v_add_co_u32_e32 v46, vcc, s2, v46
	v_add_f64 v[24:25], v[144:145], v[132:133]
	global_load_dwordx4 v[132:135], v[32:33], off offset:32
	global_load_dwordx4 v[144:147], v[32:33], off offset:16
	v_addc_co_u32_e32 v47, vcc, 0, v47, vcc
	global_load_dwordx4 v[148:151], v[46:47], off offset:1952
	global_load_dwordx4 v[162:165], v[32:33], off offset:48
	v_add_f64 v[24:25], v[136:137], v[24:25]
	v_add_f64 v[24:25], v[24:25], v[54:55]
	v_add_u32_e32 v46, 0x800, v231
	ds_read2_b64 v[166:169], v156 offset0:131 offset1:186
	v_add_f64 v[128:129], v[24:25], v[158:159]
	ds_read2_b64 v[158:161], v46 offset0:129 offset1:184
	s_waitcnt vmcnt(6)
	v_mul_f64 v[24:25], v[52:53], v[186:187]
	v_mul_f64 v[32:33], v[30:31], v[182:183]
	v_fma_f64 v[66:67], v[184:185], v[172:173], -v[24:25]
	s_waitcnt vmcnt(5)
	v_mul_f64 v[24:25], v[22:23], v[190:191]
	s_waitcnt lgkmcnt(1)
	v_fma_f64 v[136:137], v[180:181], v[168:169], -v[32:33]
	s_waitcnt vmcnt(4)
	v_mul_f64 v[32:33], v[44:45], v[194:195]
	s_waitcnt lgkmcnt(0)
	v_fma_f64 v[102:103], v[188:189], v[160:161], -v[24:25]
	v_fma_f64 v[156:157], v[192:193], v[176:177], -v[32:33]
	v_add_f64 v[24:25], v[66:67], -v[102:103]
	v_add_f64 v[32:33], v[136:137], -v[156:157]
	v_mul_f64 v[172:173], v[172:173], v[186:187]
	v_mul_f64 v[168:169], v[168:169], v[182:183]
	v_add_f64 v[32:33], v[24:25], v[32:33]
	v_fmac_f64_e32 v[172:173], v[52:53], v[184:185]
	v_fmac_f64_e32 v[168:169], v[30:31], v[180:181]
	v_add_f64 v[24:25], v[102:103], v[156:157]
	v_mul_f64 v[160:161], v[160:161], v[190:191]
	v_mul_f64 v[174:175], v[176:177], v[194:195]
	v_add_f64 v[30:31], v[172:173], -v[168:169]
	v_fma_f64 v[46:47], -0.5, v[24:25], v[152:153]
	v_fmac_f64_e32 v[160:161], v[22:23], v[188:189]
	v_fmac_f64_e32 v[174:175], v[44:45], v[192:193]
	v_fma_f64 v[24:25], s[14:15], v[30:31], v[46:47]
	v_add_f64 v[22:23], v[160:161], -v[174:175]
	v_fmac_f64_e32 v[46:47], s[4:5], v[30:31]
	v_fmac_f64_e32 v[24:25], s[10:11], v[22:23]
	;; [unrolled: 1-line block ×5, first 2 shown]
	v_add_f64 v[32:33], v[102:103], -v[66:67]
	v_add_f64 v[44:45], v[156:157], -v[136:137]
	v_add_f64 v[44:45], v[32:33], v[44:45]
	v_add_f64 v[32:33], v[66:67], v[136:137]
	v_fma_f64 v[54:55], -0.5, v[32:33], v[152:153]
	v_fma_f64 v[32:33], s[4:5], v[22:23], v[54:55]
	v_fmac_f64_e32 v[54:55], s[14:15], v[22:23]
	v_add_f64 v[22:23], v[102:103], v[152:153]
	v_add_f64 v[22:23], v[66:67], v[22:23]
	;; [unrolled: 1-line block ×3, first 2 shown]
	v_fmac_f64_e32 v[32:33], s[10:11], v[30:31]
	v_fmac_f64_e32 v[54:55], s[18:19], v[30:31]
	v_add_f64 v[170:171], v[156:157], v[22:23]
	v_add_f64 v[22:23], v[172:173], -v[160:161]
	v_add_f64 v[30:31], v[168:169], -v[174:175]
	v_add_f64 v[30:31], v[22:23], v[30:31]
	v_add_f64 v[22:23], v[160:161], v[174:175]
	v_fmac_f64_e32 v[32:33], s[12:13], v[44:45]
	v_fmac_f64_e32 v[54:55], s[12:13], v[44:45]
	v_fma_f64 v[44:45], -0.5, v[22:23], v[142:143]
	v_add_f64 v[66:67], v[66:67], -v[136:137]
	v_add_f64 v[102:103], v[102:103], -v[156:157]
	v_fma_f64 v[22:23], s[4:5], v[66:67], v[44:45]
	v_fmac_f64_e32 v[44:45], s[14:15], v[66:67]
	v_fmac_f64_e32 v[22:23], s[18:19], v[102:103]
	;; [unrolled: 1-line block ×5, first 2 shown]
	v_add_f64 v[30:31], v[160:161], -v[172:173]
	v_add_f64 v[52:53], v[174:175], -v[168:169]
	v_add_f64 v[136:137], v[30:31], v[52:53]
	v_add_f64 v[30:31], v[172:173], v[168:169]
	v_fma_f64 v[52:53], -0.5, v[30:31], v[142:143]
	v_fma_f64 v[30:31], s[14:15], v[102:103], v[52:53]
	v_fmac_f64_e32 v[52:53], s[4:5], v[102:103]
	v_fmac_f64_e32 v[30:31], s[18:19], v[66:67]
	;; [unrolled: 1-line block ×3, first 2 shown]
	v_add_f64 v[66:67], v[142:143], v[160:161]
	v_add_f64 v[66:67], v[172:173], v[66:67]
	;; [unrolled: 1-line block ×4, first 2 shown]
	s_waitcnt vmcnt(2)
	v_mul_f64 v[66:67], v[34:35], v[146:147]
	v_fma_f64 v[102:103], v[144:145], v[68:69], -v[66:67]
	s_waitcnt vmcnt(1)
	v_mul_f64 v[66:67], v[20:21], v[150:151]
	v_mul_f64 v[142:143], v[28:29], v[134:135]
	s_waitcnt vmcnt(0)
	v_mul_f64 v[152:153], v[26:27], v[164:165]
	v_mul_f64 v[68:69], v[68:69], v[146:147]
	v_fmac_f64_e32 v[30:31], s[12:13], v[136:137]
	v_fmac_f64_e32 v[52:53], s[12:13], v[136:137]
	v_fma_f64 v[136:137], v[148:149], v[158:159], -v[66:67]
	v_fma_f64 v[142:143], v[132:133], v[166:167], -v[142:143]
	;; [unrolled: 1-line block ×3, first 2 shown]
	v_fmac_f64_e32 v[68:69], v[34:35], v[144:145]
	v_mul_f64 v[34:35], v[166:167], v[134:135]
	v_mul_f64 v[146:147], v[158:159], v[150:151]
	v_fmac_f64_e32 v[34:35], v[28:29], v[132:133]
	v_add_f64 v[28:29], v[136:137], v[152:153]
	v_fmac_f64_e32 v[146:147], v[20:21], v[148:149]
	v_mul_f64 v[20:21], v[64:65], v[164:165]
	v_add_f64 v[64:65], v[136:137], -v[102:103]
	v_add_f64 v[134:135], v[152:153], -v[142:143]
	;; [unrolled: 1-line block ×5, first 2 shown]
	v_fma_f64 v[28:29], -0.5, v[28:29], v[154:155]
	v_fmac_f64_e32 v[20:21], v[26:27], v[162:163]
	v_add_f64 v[64:65], v[64:65], v[134:135]
	v_add_f64 v[134:135], v[102:103], v[142:143]
	;; [unrolled: 1-line block ×3, first 2 shown]
	v_fma_f64 v[66:67], s[14:15], v[132:133], v[28:29]
	v_add_f64 v[26:27], v[146:147], -v[20:21]
	v_fmac_f64_e32 v[28:29], s[4:5], v[132:133]
	v_fma_f64 v[134:135], -0.5, v[134:135], v[154:155]
	v_fmac_f64_e32 v[66:67], s[10:11], v[26:27]
	v_fmac_f64_e32 v[28:29], s[18:19], v[26:27]
	v_fma_f64 v[144:145], s[4:5], v[26:27], v[134:135]
	v_fmac_f64_e32 v[134:135], s[14:15], v[26:27]
	v_add_f64 v[26:27], v[136:137], v[154:155]
	v_add_f64 v[26:27], v[102:103], v[26:27]
	v_fmac_f64_e32 v[144:145], s[10:11], v[132:133]
	v_fmac_f64_e32 v[134:135], s[18:19], v[132:133]
	v_add_f64 v[26:27], v[142:143], v[26:27]
	v_fmac_f64_e32 v[144:145], s[12:13], v[64:65]
	v_fmac_f64_e32 v[134:135], s[12:13], v[64:65]
	v_add_f64 v[148:149], v[152:153], v[26:27]
	v_add_f64 v[26:27], v[68:69], -v[146:147]
	v_add_f64 v[64:65], v[34:35], -v[20:21]
	v_add_f64 v[132:133], v[26:27], v[64:65]
	v_add_f64 v[26:27], v[146:147], v[20:21]
	v_fma_f64 v[26:27], -0.5, v[26:27], v[138:139]
	v_add_f64 v[102:103], v[102:103], -v[142:143]
	v_add_f64 v[136:137], v[136:137], -v[152:153]
	v_fma_f64 v[64:65], s[4:5], v[102:103], v[26:27]
	v_fmac_f64_e32 v[26:27], s[14:15], v[102:103]
	v_fmac_f64_e32 v[64:65], s[18:19], v[136:137]
	v_fmac_f64_e32 v[26:27], s[10:11], v[136:137]
	v_fmac_f64_e32 v[64:65], s[12:13], v[132:133]
	v_fmac_f64_e32 v[26:27], s[12:13], v[132:133]
	v_add_f64 v[132:133], v[146:147], -v[68:69]
	v_add_f64 v[142:143], v[20:21], -v[34:35]
	v_add_f64 v[150:151], v[132:133], v[142:143]
	v_add_f64 v[132:133], v[68:69], v[34:35]
	v_fma_f64 v[132:133], -0.5, v[132:133], v[138:139]
	v_fma_f64 v[142:143], s[14:15], v[136:137], v[132:133]
	v_fmac_f64_e32 v[132:133], s[4:5], v[136:137]
	v_fmac_f64_e32 v[142:143], s[18:19], v[102:103]
	;; [unrolled: 1-line block ×3, first 2 shown]
	v_add_f64 v[102:103], v[138:139], v[146:147]
	v_add_f64 v[68:69], v[68:69], v[102:103]
	;; [unrolled: 1-line block ×3, first 2 shown]
	s_mov_b32 s0, 0x551c979b
	v_add_f64 v[146:147], v[34:35], v[20:21]
	v_mul_hi_u32 v20, v230, s0
	v_lshrrev_b32_e32 v20, 7, v20
	v_mul_u32_u24_e32 v20, 0x181, v20
	v_sub_u32_e32 v102, v230, v20
	v_mad_u64_u32 v[34:35], s[2:3], s16, v102, 0
	v_mov_b32_e32 v20, v35
	v_mad_u64_u32 v[20:21], s[2:3], s17, v102, v[20:21]
	v_mov_b32_e32 v35, v20
	v_lshl_add_u64 v[20:21], v[140:141], 4, s[6:7]
	v_lshl_add_u64 v[20:21], v[218:219], 4, v[20:21]
	;; [unrolled: 1-line block ×3, first 2 shown]
	v_add_u32_e32 v69, 0x181, v102
	global_store_dwordx4 v[34:35], v[146:149], off
	v_mad_u64_u32 v[34:35], s[2:3], s16, v69, 0
	v_mov_b32_e32 v68, v35
	v_mad_u64_u32 v[68:69], s[2:3], s17, v69, v[68:69]
	v_mov_b32_e32 v35, v68
	v_fmac_f64_e32 v[132:133], s[12:13], v[150:151]
	v_lshl_add_u64 v[34:35], v[34:35], 4, v[20:21]
	v_add_u32_e32 v69, 0x302, v102
	global_store_dwordx4 v[34:35], v[132:135], off
	v_mad_u64_u32 v[34:35], s[2:3], s16, v69, 0
	v_mov_b32_e32 v68, v35
	v_mad_u64_u32 v[68:69], s[2:3], s17, v69, v[68:69]
	v_mov_b32_e32 v35, v68
	v_fmac_f64_e32 v[28:29], s[12:13], v[156:157]
	v_lshl_add_u64 v[34:35], v[34:35], 4, v[20:21]
	global_store_dwordx4 v[34:35], v[26:29], off
	v_fmac_f64_e32 v[66:67], s[12:13], v[156:157]
	v_fmac_f64_e32 v[142:143], s[12:13], v[150:151]
	v_add_u32_e32 v29, 0x483, v102
	v_mad_u64_u32 v[26:27], s[2:3], s16, v29, 0
	v_mov_b32_e32 v28, v27
	v_mad_u64_u32 v[28:29], s[2:3], s17, v29, v[28:29]
	v_mov_b32_e32 v27, v28
	v_lshl_add_u64 v[26:27], v[26:27], 4, v[20:21]
	v_add_u32_e32 v29, 0x604, v102
	global_store_dwordx4 v[26:27], v[64:67], off
	v_mad_u64_u32 v[26:27], s[2:3], s16, v29, 0
	v_mov_b32_e32 v28, v27
	v_mad_u64_u32 v[28:29], s[2:3], s17, v29, v[28:29]
	v_mov_b32_e32 v27, v28
	v_lshl_add_u64 v[26:27], v[26:27], 4, v[20:21]
	global_store_dwordx4 v[26:27], v[142:145], off
	v_add_u32_e32 v26, 55, v230
	v_mul_hi_u32 v27, v26, s0
	v_lshrrev_b32_e32 v27, 7, v27
	v_mul_u32_u24_e32 v28, 0x181, v27
	v_sub_u32_e32 v26, v26, v28
	s_movk_i32 s1, 0x785
	v_mad_u32_u24 v34, v27, s1, v26
	v_mad_u64_u32 v[26:27], s[2:3], s16, v34, 0
	v_mov_b32_e32 v28, v27
	v_mad_u64_u32 v[28:29], s[2:3], s17, v34, v[28:29]
	v_mov_b32_e32 v27, v28
	v_lshl_add_u64 v[26:27], v[26:27], 4, v[20:21]
	v_add_u32_e32 v29, 0x181, v34
	global_store_dwordx4 v[26:27], v[168:171], off
	v_mad_u64_u32 v[26:27], s[2:3], s16, v29, 0
	v_mov_b32_e32 v28, v27
	v_mad_u64_u32 v[28:29], s[2:3], s17, v29, v[28:29]
	v_mov_b32_e32 v27, v28
	v_lshl_add_u64 v[26:27], v[26:27], 4, v[20:21]
	v_add_u32_e32 v29, 0x302, v34
	global_store_dwordx4 v[26:27], v[52:55], off
	;; [unrolled: 7-line block ×3, first 2 shown]
	v_mad_u64_u32 v[26:27], s[2:3], s16, v29, 0
	v_mov_b32_e32 v28, v27
	v_mad_u64_u32 v[28:29], s[2:3], s17, v29, v[28:29]
	v_mov_b32_e32 v27, v28
	v_lshl_add_u64 v[26:27], v[26:27], 4, v[20:21]
	global_store_dwordx4 v[26:27], v[22:25], off
	s_nop 1
	v_add_u32_e32 v25, 0x604, v34
	v_mad_u64_u32 v[22:23], s[2:3], s16, v25, 0
	v_mov_b32_e32 v24, v23
	v_mad_u64_u32 v[24:25], s[2:3], s17, v25, v[24:25]
	v_mov_b32_e32 v23, v24
	v_lshl_add_u64 v[22:23], v[22:23], 4, v[20:21]
	global_store_dwordx4 v[22:23], v[30:33], off
	v_add_u32_e32 v22, 0x6e, v230
	v_mul_hi_u32 v23, v22, s0
	v_lshrrev_b32_e32 v23, 7, v23
	v_mul_u32_u24_e32 v24, 0x181, v23
	v_sub_u32_e32 v22, v22, v24
	v_mad_u32_u24 v26, v23, s1, v22
	v_mad_u64_u32 v[22:23], s[2:3], s16, v26, 0
	v_mov_b32_e32 v24, v23
	v_mad_u64_u32 v[24:25], s[2:3], s17, v26, v[24:25]
	v_mov_b32_e32 v23, v24
	v_lshl_add_u64 v[22:23], v[22:23], 4, v[20:21]
	v_add_u32_e32 v25, 0x181, v26
	global_store_dwordx4 v[22:23], v[128:131], off
	v_mad_u64_u32 v[22:23], s[2:3], s16, v25, 0
	v_mov_b32_e32 v24, v23
	v_mad_u64_u32 v[24:25], s[2:3], s17, v25, v[24:25]
	v_mov_b32_e32 v23, v24
	v_lshl_add_u64 v[22:23], v[22:23], 4, v[20:21]
	v_add_u32_e32 v25, 0x302, v26
	global_store_dwordx4 v[22:23], v[124:127], off
	v_mad_u64_u32 v[22:23], s[2:3], s16, v25, 0
	v_mov_b32_e32 v24, v23
	v_mad_u64_u32 v[24:25], s[2:3], s17, v25, v[24:25]
	v_mov_b32_e32 v23, v24
	v_lshl_add_u64 v[22:23], v[22:23], 4, v[20:21]
	v_add_u32_e32 v25, 0x483, v26
	global_store_dwordx4 v[22:23], v[120:123], off
	v_mad_u64_u32 v[22:23], s[2:3], s16, v25, 0
	v_mov_b32_e32 v24, v23
	v_mad_u64_u32 v[24:25], s[2:3], s17, v25, v[24:25]
	v_mov_b32_e32 v23, v24
	v_lshl_add_u64 v[22:23], v[22:23], 4, v[20:21]
	v_add_u32_e32 v25, 0x604, v26
	global_store_dwordx4 v[22:23], v[70:73], off
	v_mad_u64_u32 v[22:23], s[2:3], s16, v25, 0
	v_mov_b32_e32 v24, v23
	v_mad_u64_u32 v[24:25], s[2:3], s17, v25, v[24:25]
	v_mov_b32_e32 v23, v24
	v_lshl_add_u64 v[22:23], v[22:23], 4, v[20:21]
	global_store_dwordx4 v[22:23], v[74:77], off
	v_add_u32_e32 v22, 0xa5, v230
	v_mul_hi_u32 v23, v22, s0
	v_lshrrev_b32_e32 v23, 7, v23
	v_mul_u32_u24_e32 v24, 0x181, v23
	v_sub_u32_e32 v22, v22, v24
	v_mad_u32_u24 v26, v23, s1, v22
	v_mad_u64_u32 v[22:23], s[2:3], s16, v26, 0
	v_mov_b32_e32 v24, v23
	v_mad_u64_u32 v[24:25], s[2:3], s17, v26, v[24:25]
	v_mov_b32_e32 v23, v24
	v_lshl_add_u64 v[22:23], v[22:23], 4, v[20:21]
	v_add_u32_e32 v25, 0x181, v26
	global_store_dwordx4 v[22:23], v[116:119], off
	v_mad_u64_u32 v[22:23], s[2:3], s16, v25, 0
	v_mov_b32_e32 v24, v23
	v_mad_u64_u32 v[24:25], s[2:3], s17, v25, v[24:25]
	v_mov_b32_e32 v23, v24
	v_lshl_add_u64 v[22:23], v[22:23], 4, v[20:21]
	v_add_u32_e32 v25, 0x302, v26
	global_store_dwordx4 v[22:23], v[112:115], off
	v_mad_u64_u32 v[22:23], s[2:3], s16, v25, 0
	v_mov_b32_e32 v24, v23
	v_mad_u64_u32 v[24:25], s[2:3], s17, v25, v[24:25]
	v_mov_b32_e32 v23, v24
	v_lshl_add_u64 v[22:23], v[22:23], 4, v[20:21]
	v_add_u32_e32 v25, 0x483, v26
	global_store_dwordx4 v[22:23], v[108:111], off
	v_mad_u64_u32 v[22:23], s[2:3], s16, v25, 0
	v_mov_b32_e32 v24, v23
	v_mad_u64_u32 v[24:25], s[2:3], s17, v25, v[24:25]
	v_mov_b32_e32 v23, v24
	v_lshl_add_u64 v[22:23], v[22:23], 4, v[20:21]
	v_add_u32_e32 v25, 0x604, v26
	global_store_dwordx4 v[22:23], v[78:81], off
	;; [unrolled: 40-line block ×4, first 2 shown]
	v_mad_u64_u32 v[22:23], s[2:3], s16, v25, 0
	v_mov_b32_e32 v24, v23
	v_mad_u64_u32 v[24:25], s[2:3], s17, v25, v[24:25]
	v_mov_b32_e32 v23, v24
	v_lshl_add_u64 v[22:23], v[22:23], 4, v[20:21]
	global_store_dwordx4 v[22:23], v[40:43], off
	v_add_u32_e32 v22, 0x14a, v230
	v_mul_hi_u32 v23, v22, s0
	v_lshrrev_b32_e32 v23, 7, v23
	v_mul_u32_u24_e32 v24, 0x181, v23
	v_sub_u32_e32 v22, v22, v24
	v_mad_u32_u24 v26, v23, s1, v22
	v_mad_u64_u32 v[22:23], s[0:1], s16, v26, 0
	v_mov_b32_e32 v24, v23
	v_mad_u64_u32 v[24:25], s[0:1], s17, v26, v[24:25]
	v_mov_b32_e32 v23, v24
	v_lshl_add_u64 v[22:23], v[22:23], 4, v[20:21]
	global_store_dwordx4 v[22:23], v[16:19], off
	s_nop 1
	v_add_u32_e32 v19, 0x181, v26
	v_mad_u64_u32 v[16:17], s[0:1], s16, v19, 0
	v_mov_b32_e32 v18, v17
	v_mad_u64_u32 v[18:19], s[0:1], s17, v19, v[18:19]
	v_mov_b32_e32 v17, v18
	v_lshl_add_u64 v[16:17], v[16:17], 4, v[20:21]
	global_store_dwordx4 v[16:17], v[12:15], off
	s_nop 1
	v_add_u32_e32 v15, 0x302, v26
	;; [unrolled: 8-line block ×4, first 2 shown]
	v_mad_u64_u32 v[4:5], s[0:1], s16, v7, 0
	v_mov_b32_e32 v6, v5
	v_mad_u64_u32 v[6:7], s[0:1], s17, v7, v[6:7]
	v_mov_b32_e32 v5, v6
	v_lshl_add_u64 v[4:5], v[4:5], 4, v[20:21]
	global_store_dwordx4 v[4:5], v[0:3], off
.LBB0_23:
	s_endpgm
	.section	.rodata,"a",@progbits
	.p2align	6, 0x0
	.amdhsa_kernel fft_rtc_back_len1925_factors_7_11_5_5_wgs_55_tpt_55_halfLds_dp_op_CI_CI_sbrr_dirReg
		.amdhsa_group_segment_fixed_size 0
		.amdhsa_private_segment_fixed_size 0
		.amdhsa_kernarg_size 104
		.amdhsa_user_sgpr_count 2
		.amdhsa_user_sgpr_dispatch_ptr 0
		.amdhsa_user_sgpr_queue_ptr 0
		.amdhsa_user_sgpr_kernarg_segment_ptr 1
		.amdhsa_user_sgpr_dispatch_id 0
		.amdhsa_user_sgpr_kernarg_preload_length 0
		.amdhsa_user_sgpr_kernarg_preload_offset 0
		.amdhsa_user_sgpr_private_segment_size 0
		.amdhsa_uses_dynamic_stack 0
		.amdhsa_enable_private_segment 0
		.amdhsa_system_sgpr_workgroup_id_x 1
		.amdhsa_system_sgpr_workgroup_id_y 0
		.amdhsa_system_sgpr_workgroup_id_z 0
		.amdhsa_system_sgpr_workgroup_info 0
		.amdhsa_system_vgpr_workitem_id 0
		.amdhsa_next_free_vgpr 291
		.amdhsa_next_free_sgpr 42
		.amdhsa_accum_offset 256
		.amdhsa_reserve_vcc 1
		.amdhsa_float_round_mode_32 0
		.amdhsa_float_round_mode_16_64 0
		.amdhsa_float_denorm_mode_32 3
		.amdhsa_float_denorm_mode_16_64 3
		.amdhsa_dx10_clamp 1
		.amdhsa_ieee_mode 1
		.amdhsa_fp16_overflow 0
		.amdhsa_tg_split 0
		.amdhsa_exception_fp_ieee_invalid_op 0
		.amdhsa_exception_fp_denorm_src 0
		.amdhsa_exception_fp_ieee_div_zero 0
		.amdhsa_exception_fp_ieee_overflow 0
		.amdhsa_exception_fp_ieee_underflow 0
		.amdhsa_exception_fp_ieee_inexact 0
		.amdhsa_exception_int_div_zero 0
	.end_amdhsa_kernel
	.text
.Lfunc_end0:
	.size	fft_rtc_back_len1925_factors_7_11_5_5_wgs_55_tpt_55_halfLds_dp_op_CI_CI_sbrr_dirReg, .Lfunc_end0-fft_rtc_back_len1925_factors_7_11_5_5_wgs_55_tpt_55_halfLds_dp_op_CI_CI_sbrr_dirReg
                                        ; -- End function
	.section	.AMDGPU.csdata,"",@progbits
; Kernel info:
; codeLenInByte = 30740
; NumSgprs: 48
; NumVgprs: 256
; NumAgprs: 35
; TotalNumVgprs: 291
; ScratchSize: 0
; MemoryBound: 1
; FloatMode: 240
; IeeeMode: 1
; LDSByteSize: 0 bytes/workgroup (compile time only)
; SGPRBlocks: 5
; VGPRBlocks: 36
; NumSGPRsForWavesPerEU: 48
; NumVGPRsForWavesPerEU: 291
; AccumOffset: 256
; Occupancy: 1
; WaveLimiterHint : 1
; COMPUTE_PGM_RSRC2:SCRATCH_EN: 0
; COMPUTE_PGM_RSRC2:USER_SGPR: 2
; COMPUTE_PGM_RSRC2:TRAP_HANDLER: 0
; COMPUTE_PGM_RSRC2:TGID_X_EN: 1
; COMPUTE_PGM_RSRC2:TGID_Y_EN: 0
; COMPUTE_PGM_RSRC2:TGID_Z_EN: 0
; COMPUTE_PGM_RSRC2:TIDIG_COMP_CNT: 0
; COMPUTE_PGM_RSRC3_GFX90A:ACCUM_OFFSET: 63
; COMPUTE_PGM_RSRC3_GFX90A:TG_SPLIT: 0
	.text
	.p2alignl 6, 3212836864
	.fill 256, 4, 3212836864
	.type	__hip_cuid_2d38c570766120f2,@object ; @__hip_cuid_2d38c570766120f2
	.section	.bss,"aw",@nobits
	.globl	__hip_cuid_2d38c570766120f2
__hip_cuid_2d38c570766120f2:
	.byte	0                               ; 0x0
	.size	__hip_cuid_2d38c570766120f2, 1

	.ident	"AMD clang version 19.0.0git (https://github.com/RadeonOpenCompute/llvm-project roc-6.4.0 25133 c7fe45cf4b819c5991fe208aaa96edf142730f1d)"
	.section	".note.GNU-stack","",@progbits
	.addrsig
	.addrsig_sym __hip_cuid_2d38c570766120f2
	.amdgpu_metadata
---
amdhsa.kernels:
  - .agpr_count:     35
    .args:
      - .actual_access:  read_only
        .address_space:  global
        .offset:         0
        .size:           8
        .value_kind:     global_buffer
      - .offset:         8
        .size:           8
        .value_kind:     by_value
      - .actual_access:  read_only
        .address_space:  global
        .offset:         16
        .size:           8
        .value_kind:     global_buffer
      - .actual_access:  read_only
        .address_space:  global
        .offset:         24
        .size:           8
        .value_kind:     global_buffer
      - .actual_access:  read_only
        .address_space:  global
        .offset:         32
        .size:           8
        .value_kind:     global_buffer
      - .offset:         40
        .size:           8
        .value_kind:     by_value
      - .actual_access:  read_only
        .address_space:  global
        .offset:         48
        .size:           8
        .value_kind:     global_buffer
      - .actual_access:  read_only
        .address_space:  global
        .offset:         56
        .size:           8
        .value_kind:     global_buffer
      - .offset:         64
        .size:           4
        .value_kind:     by_value
      - .actual_access:  read_only
        .address_space:  global
        .offset:         72
        .size:           8
        .value_kind:     global_buffer
      - .actual_access:  read_only
        .address_space:  global
        .offset:         80
        .size:           8
        .value_kind:     global_buffer
      - .actual_access:  read_only
        .address_space:  global
        .offset:         88
        .size:           8
        .value_kind:     global_buffer
      - .actual_access:  write_only
        .address_space:  global
        .offset:         96
        .size:           8
        .value_kind:     global_buffer
    .group_segment_fixed_size: 0
    .kernarg_segment_align: 8
    .kernarg_segment_size: 104
    .language:       OpenCL C
    .language_version:
      - 2
      - 0
    .max_flat_workgroup_size: 55
    .name:           fft_rtc_back_len1925_factors_7_11_5_5_wgs_55_tpt_55_halfLds_dp_op_CI_CI_sbrr_dirReg
    .private_segment_fixed_size: 0
    .sgpr_count:     48
    .sgpr_spill_count: 0
    .symbol:         fft_rtc_back_len1925_factors_7_11_5_5_wgs_55_tpt_55_halfLds_dp_op_CI_CI_sbrr_dirReg.kd
    .uniform_work_group_size: 1
    .uses_dynamic_stack: false
    .vgpr_count:     291
    .vgpr_spill_count: 0
    .wavefront_size: 64
amdhsa.target:   amdgcn-amd-amdhsa--gfx950
amdhsa.version:
  - 1
  - 2
...

	.end_amdgpu_metadata
